;; amdgpu-corpus repo=ggml-org/llama.cpp kind=compiled arch=gfx906 opt=O3
	.amdgcn_target "amdgcn-amd-amdhsa--gfx906"
	.amdhsa_code_object_version 6
	.section	.text._Z20gated_delta_net_cudaILi16ELb1ELb1EEvPKfS1_S1_S1_S1_S1_Pfllllllllllll15HIP_vector_typeIjLj3EES4_fi,"axG",@progbits,_Z20gated_delta_net_cudaILi16ELb1ELb1EEvPKfS1_S1_S1_S1_S1_Pfllllllllllll15HIP_vector_typeIjLj3EES4_fi,comdat
	.protected	_Z20gated_delta_net_cudaILi16ELb1ELb1EEvPKfS1_S1_S1_S1_S1_Pfllllllllllll15HIP_vector_typeIjLj3EES4_fi ; -- Begin function _Z20gated_delta_net_cudaILi16ELb1ELb1EEvPKfS1_S1_S1_S1_S1_Pfllllllllllll15HIP_vector_typeIjLj3EES4_fi
	.globl	_Z20gated_delta_net_cudaILi16ELb1ELb1EEvPKfS1_S1_S1_S1_S1_Pfllllllllllll15HIP_vector_typeIjLj3EES4_fi
	.p2align	8
	.type	_Z20gated_delta_net_cudaILi16ELb1ELb1EEvPKfS1_S1_S1_S1_S1_Pfllllllllllll15HIP_vector_typeIjLj3EES4_fi,@function
_Z20gated_delta_net_cudaILi16ELb1ELb1EEvPKfS1_S1_S1_S1_S1_Pfllllllllllll15HIP_vector_typeIjLj3EES4_fi: ; @_Z20gated_delta_net_cudaILi16ELb1ELb1EEvPKfS1_S1_S1_S1_S1_Pfllllllllllll15HIP_vector_typeIjLj3EES4_fi
; %bb.0:
	s_load_dwordx16 s[12:27], s[4:5], 0x40
	s_waitcnt lgkmcnt(0)
	v_cmp_lt_i64_e64 s[0:1], s[12:13], 1
	s_and_b64 vcc, exec, s[0:1]
	s_cbranch_vccnz .LBB0_7
; %bb.1:
	s_load_dwordx16 s[36:51], s[4:5], 0x0
	s_load_dwordx4 s[0:3], s[4:5], 0x80
	s_load_dwordx2 s[30:31], s[4:5], 0x90
	s_mov_b32 s29, 0
	v_lshlrev_b32_e32 v16, 2, v0
	s_waitcnt lgkmcnt(0)
	s_mul_i32 s9, s50, s15
	s_mul_hi_u32 s10, s50, s14
	s_mul_i32 s11, s51, s14
	s_add_i32 s9, s10, s9
	s_add_i32 s15, s9, s11
	s_mul_i32 s9, s51, s7
	s_mul_hi_u32 s10, s50, s7
	s_add_i32 s35, s10, s9
	s_mul_i32 s34, s50, s7
	s_lshl_b64 s[10:11], s[34:35], 10
	s_add_u32 s9, s46, s10
	s_addc_u32 s33, s47, s11
	s_load_dwordx2 s[10:11], s[4:5], 0xb0
	s_load_dword s46, s[4:5], 0xc4
	s_lshl_b32 s28, s6, 8
	s_lshl_b64 s[28:29], s[28:29], 2
	s_add_u32 s9, s9, s28
	s_addc_u32 s28, s33, s29
	s_waitcnt lgkmcnt(0)
	s_lshr_b32 s29, s46, 16
	s_mul_i32 s8, s8, s29
	v_add_u32_e32 v1, s8, v1
	v_lshlrev_b32_e32 v3, 4, v1
	v_ashrrev_i32_e32 v4, 31, v3
	v_lshlrev_b64 v[4:5], 2, v[3:4]
	v_mov_b32_e32 v2, s28
	v_add_co_u32_e32 v4, vcc, s9, v4
	v_addc_co_u32_e32 v2, vcc, v2, v5, vcc
	v_add_co_u32_e32 v4, vcc, v4, v16
	v_addc_co_u32_e32 v5, vcc, 0, v2, vcc
	global_load_dword v8, v[4:5], off
	s_mul_i32 s9, s34, s13
	s_mul_hi_u32 s28, s34, s12
	s_mul_i32 s8, s35, s12
	s_add_i32 s9, s28, s9
	s_add_i32 s9, s9, s8
	s_mul_i32 s8, s34, s12
	s_add_u32 s8, s8, s6
	s_addc_u32 s9, s9, 0
	s_mul_i32 s14, s50, s14
	s_lshl_b64 s[28:29], s[8:9], 6
	s_load_dwordx4 s[52:55], s[4:5], 0x98
	s_add_u32 s8, s34, s6
	s_mul_i32 s33, s14, s13
	s_mul_hi_u32 s34, s14, s12
	s_addc_u32 s9, s35, 0
	s_add_i32 s33, s34, s33
	s_mul_i32 s34, s15, s12
	s_load_dword s4, s[4:5], 0xa8
	v_mbcnt_lo_u32_b32 v2, -1, 0
	s_add_i32 s35, s33, s34
	s_mul_i32 s34, s14, s12
	v_mbcnt_hi_u32_b32 v2, -1, v2
	s_lshl_b64 s[34:35], s[34:35], 6
	v_and_b32_e32 v4, 0x70, v2
	s_add_u32 s33, s48, s34
	s_waitcnt lgkmcnt(0)
	s_mul_hi_u32 s5, s55, s7
	v_add_u32_e32 v4, 16, v4
	v_xor_b32_e32 v5, 8, v2
	s_addc_u32 s34, s49, s35
	s_add_i32 s5, s7, s5
	v_cmp_lt_i32_e32 vcc, v5, v4
	s_lshr_b32 s35, s5, s4
	s_mul_hi_u32 s4, s52, s6
	v_cndmask_b32_e32 v5, v2, v5, vcc
	s_add_i32 s4, s6, s4
	v_lshlrev_b32_e32 v9, 2, v5
	v_xor_b32_e32 v5, 4, v2
	s_lshr_b32 s4, s4, s53
	v_cmp_lt_i32_e32 vcc, v5, v4
	s_mul_i32 s4, s4, s54
	v_cndmask_b32_e32 v5, v2, v5, vcc
	s_sub_i32 s46, s6, s4
	s_mul_i32 s4, s27, s7
	s_mul_hi_u32 s5, s26, s7
	v_lshlrev_b32_e32 v10, 2, v5
	v_xor_b32_e32 v5, 2, v2
	s_add_i32 s5, s5, s4
	s_mul_i32 s4, s26, s7
	v_cmp_lt_i32_e32 vcc, v5, v4
	s_lshl_b64 s[4:5], s[4:5], 2
	v_cndmask_b32_e32 v5, v2, v5, vcc
	s_add_u32 s26, s40, s4
	v_lshlrev_b32_e32 v11, 2, v5
	v_xor_b32_e32 v5, 1, v2
	s_addc_u32 s27, s41, s5
	s_mul_i32 s4, s23, s6
	s_mul_hi_u32 s5, s22, s6
	v_cmp_lt_i32_e32 vcc, v5, v4
	s_add_i32 s5, s5, s4
	s_mul_i32 s4, s22, s6
	v_cndmask_b32_e32 v2, v2, v5, vcc
	s_lshl_b64 s[4:5], s[4:5], 2
	v_lshlrev_b32_e32 v12, 2, v2
	v_ashrrev_i32_e32 v2, 31, v1
	s_add_u32 s4, s26, s4
	s_mul_i32 s22, s31, s7
	s_mul_hi_u32 s23, s30, s7
	v_lshlrev_b64 v[5:6], 2, v[1:2]
	s_addc_u32 s5, s27, s5
	s_add_i32 s23, s23, s22
	s_mul_i32 s22, s30, s7
	s_mul_i32 s1, s1, s6
	s_mul_hi_u32 s7, s0, s6
	v_add_u32_e32 v3, v3, v0
	s_add_i32 s27, s7, s1
	s_mul_i32 s30, s0, s6
	v_mov_b32_e32 v2, s5
	v_add_co_u32_e32 v1, vcc, s4, v5
	s_lshl_b64 s[4:5], s[14:15], 8
	s_lshl_b64 s[6:7], s[8:9], 10
	v_ashrrev_i32_e32 v4, 31, v3
	s_add_u32 s6, s33, s6
	v_lshlrev_b64 v[3:4], 2, v[3:4]
	v_addc_co_u32_e32 v2, vcc, v2, v6, vcc
	s_addc_u32 s7, s34, s7
	v_cmp_eq_u32_e64 s[0:1], 0, v0
	v_mov_b32_e32 v13, s7
	v_add_co_u32_e32 v0, vcc, s6, v3
	s_mul_i32 s6, s21, s35
	s_mul_hi_u32 s7, s20, s35
	s_mul_i32 s8, s17, s46
	s_mul_hi_u32 s9, s16, s46
	s_add_i32 s7, s7, s6
	s_mul_i32 s6, s20, s35
	s_add_i32 s9, s9, s8
	s_mul_i32 s8, s16, s46
	s_add_i32 s26, s12, -1
	s_lshl_b64 s[6:7], s[6:7], 2
	s_lshl_b64 s[8:9], s[8:9], 2
	s_add_u32 s6, s6, s8
	v_addc_co_u32_e32 v13, vcc, v13, v4, vcc
	s_addc_u32 s7, s7, s9
	v_mov_b32_e32 v3, s7
	v_add_co_u32_e32 v14, vcc, s6, v16
	s_lshl_b64 s[6:7], s[18:19], 2
	s_lshl_b64 s[8:9], s[24:25], 2
	s_add_u32 s18, s22, s30
	s_addc_u32 s19, s23, s27
	s_lshl_b64 s[14:15], s[18:19], 2
	s_add_u32 s14, s44, s14
	s_addc_u32 s15, s45, s15
	s_lshl_b64 s[16:17], s[2:3], 2
	s_lshl_b64 s[18:19], s[18:19], 6
	s_add_u32 s18, s42, s18
	v_addc_co_u32_e32 v15, vcc, 0, v3, vcc
	s_addc_u32 s19, s43, s19
	v_mov_b32_e32 v4, s19
	v_add_co_u32_e32 v3, vcc, s18, v16
	s_lshl_b64 s[18:19], s[2:3], 6
	s_add_u32 s2, s48, s28
	v_addc_co_u32_e32 v4, vcc, 0, v4, vcc
	s_addc_u32 s3, s49, s29
	v_mov_b32_e32 v16, s3
	v_add_co_u32_e32 v5, vcc, s2, v5
	v_mov_b32_e32 v7, 0
	v_addc_co_u32_e32 v6, vcc, v16, v6, vcc
	s_lshl_b64 s[20:21], s[50:51], 6
	s_mov_b64 s[22:23], 0
	s_mov_b32 s24, 0x3fb8aa3b
	s_mov_b32 s25, 0xc2ce8ed0
	;; [unrolled: 1-line block ×3, first 2 shown]
	v_mov_b32_e32 v16, 0x7f800000
	s_branch .LBB0_3
.LBB0_2:                                ;   in Loop: Header=BB0_3 Depth=1
	v_mov_b32_e32 v17, s7
	v_add_co_u32_e32 v14, vcc, s6, v14
	v_addc_co_u32_e32 v15, vcc, v15, v17, vcc
	v_mov_b32_e32 v17, s9
	v_add_co_u32_e32 v1, vcc, s8, v1
	v_addc_co_u32_e32 v2, vcc, v2, v17, vcc
	s_add_u32 s22, s22, 1
	v_mov_b32_e32 v17, s19
	v_add_co_u32_e32 v3, vcc, s18, v3
	s_addc_u32 s23, s23, 0
	v_addc_co_u32_e32 v4, vcc, v4, v17, vcc
	s_waitcnt lgkmcnt(0)
	v_mov_b32_e32 v17, s22
	v_mov_b32_e32 v18, s23
	s_add_i32 s26, s26, -1
	v_cmp_le_i64_e32 vcc, s[12:13], v[17:18]
	s_add_u32 s14, s14, s16
	v_mov_b32_e32 v19, s21
	v_add_co_u32_e64 v5, s[2:3], s20, v5
	s_addc_u32 s15, s15, s17
	v_addc_co_u32_e64 v6, s[2:3], v6, v19, s[2:3]
	s_cbranch_vccnz .LBB0_7
.LBB0_3:                                ; =>This Inner Loop Header: Depth=1
	v_mov_b32_e32 v18, s39
	v_add_co_u32_e32 v17, vcc, s38, v14
	v_addc_co_u32_e32 v18, vcc, v18, v15, vcc
	global_load_dword v19, v[17:18], off
	global_load_dword v20, v[3:4], off
	s_waitcnt vmcnt(0)
	v_mul_f32_e32 v17, 0x3fb8aa3b, v20
	v_fma_f32 v18, v20, s24, -v17
	v_cmp_ngt_f32_e32 vcc, s25, v20
	v_cmp_nlt_f32_e64 s[2:3], s27, v20
	v_fmac_f32_e32 v18, 0x32a5705f, v20
	v_rndne_f32_e32 v20, v17
	v_sub_f32_e32 v17, v17, v20
	v_add_f32_e32 v17, v17, v18
	v_cvt_i32_f32_e32 v18, v20
	v_exp_f32_e32 v17, v17
	v_ldexp_f32 v17, v17, v18
	v_cndmask_b32_e32 v17, 0, v17, vcc
	v_cndmask_b32_e64 v17, v16, v17, s[2:3]
	v_mul_f32_e32 v8, v8, v17
	v_fma_f32 v17, v19, v8, 0
	ds_bpermute_b32 v18, v9, v17
	s_waitcnt lgkmcnt(0)
	v_add_f32_e32 v17, v17, v18
	ds_bpermute_b32 v18, v10, v17
	s_waitcnt lgkmcnt(0)
	v_add_f32_e32 v17, v17, v18
	;; [unrolled: 3-line block ×4, first 2 shown]
	global_load_dword v18, v[1:2], off
	s_waitcnt vmcnt(0)
	v_sub_f32_e32 v17, v18, v17
	global_load_dword v18, v7, s[14:15]
	s_waitcnt vmcnt(0)
	v_mul_f32_e32 v17, v18, v17
	v_fmac_f32_e32 v8, v19, v17
	v_mov_b32_e32 v18, s37
	v_add_co_u32_e32 v17, vcc, s36, v14
	v_addc_co_u32_e32 v18, vcc, v18, v15, vcc
	global_load_dword v17, v[17:18], off
	s_waitcnt vmcnt(0)
	v_fma_f32 v17, v17, v8, 0
	ds_bpermute_b32 v18, v9, v17
	s_waitcnt lgkmcnt(0)
	v_add_f32_e32 v17, v17, v18
	ds_bpermute_b32 v18, v10, v17
	s_waitcnt lgkmcnt(0)
	v_add_f32_e32 v17, v17, v18
	;; [unrolled: 3-line block ×3, first 2 shown]
	ds_bpermute_b32 v18, v12, v17
	s_and_saveexec_b64 s[2:3], s[0:1]
	s_cbranch_execz .LBB0_5
; %bb.4:                                ;   in Loop: Header=BB0_3 Depth=1
	s_waitcnt lgkmcnt(0)
	v_add_f32_e32 v17, v17, v18
	v_mul_f32_e32 v17, s10, v17
	global_store_dword v[5:6], v17, off
.LBB0_5:                                ;   in Loop: Header=BB0_3 Depth=1
	s_or_b64 exec, exec, s[2:3]
	s_cmp_lt_i32 s26, 0
	s_cselect_b64 s[2:3], -1, 0
	s_cmp_ge_i32 s26, s11
	s_cselect_b64 s[28:29], -1, 0
	s_or_b64 s[2:3], s[2:3], s[28:29]
	s_and_b64 vcc, exec, s[2:3]
	s_cbranch_vccnz .LBB0_2
; %bb.6:                                ;   in Loop: Header=BB0_3 Depth=1
	s_mul_i32 s2, s5, s26
	s_mul_hi_u32 s3, s4, s26
	s_add_i32 s3, s3, s2
	s_mul_i32 s2, s4, s26
	s_lshl_b64 s[2:3], s[2:3], 2
	s_waitcnt lgkmcnt(0)
	v_mov_b32_e32 v18, s3
	v_add_co_u32_e32 v17, vcc, s2, v0
	v_addc_co_u32_e32 v18, vcc, v13, v18, vcc
	global_store_dword v[17:18], v8, off
	s_branch .LBB0_2
.LBB0_7:
	s_endpgm
	.section	.rodata,"a",@progbits
	.p2align	6, 0x0
	.amdhsa_kernel _Z20gated_delta_net_cudaILi16ELb1ELb1EEvPKfS1_S1_S1_S1_S1_Pfllllllllllll15HIP_vector_typeIjLj3EES4_fi
		.amdhsa_group_segment_fixed_size 0
		.amdhsa_private_segment_fixed_size 0
		.amdhsa_kernarg_size 440
		.amdhsa_user_sgpr_count 6
		.amdhsa_user_sgpr_private_segment_buffer 1
		.amdhsa_user_sgpr_dispatch_ptr 0
		.amdhsa_user_sgpr_queue_ptr 0
		.amdhsa_user_sgpr_kernarg_segment_ptr 1
		.amdhsa_user_sgpr_dispatch_id 0
		.amdhsa_user_sgpr_flat_scratch_init 0
		.amdhsa_user_sgpr_private_segment_size 0
		.amdhsa_uses_dynamic_stack 0
		.amdhsa_system_sgpr_private_segment_wavefront_offset 0
		.amdhsa_system_sgpr_workgroup_id_x 1
		.amdhsa_system_sgpr_workgroup_id_y 1
		.amdhsa_system_sgpr_workgroup_id_z 1
		.amdhsa_system_sgpr_workgroup_info 0
		.amdhsa_system_vgpr_workitem_id 1
		.amdhsa_next_free_vgpr 21
		.amdhsa_next_free_sgpr 56
		.amdhsa_reserve_vcc 1
		.amdhsa_reserve_flat_scratch 0
		.amdhsa_float_round_mode_32 0
		.amdhsa_float_round_mode_16_64 0
		.amdhsa_float_denorm_mode_32 3
		.amdhsa_float_denorm_mode_16_64 3
		.amdhsa_dx10_clamp 1
		.amdhsa_ieee_mode 1
		.amdhsa_fp16_overflow 0
		.amdhsa_exception_fp_ieee_invalid_op 0
		.amdhsa_exception_fp_denorm_src 0
		.amdhsa_exception_fp_ieee_div_zero 0
		.amdhsa_exception_fp_ieee_overflow 0
		.amdhsa_exception_fp_ieee_underflow 0
		.amdhsa_exception_fp_ieee_inexact 0
		.amdhsa_exception_int_div_zero 0
	.end_amdhsa_kernel
	.section	.text._Z20gated_delta_net_cudaILi16ELb1ELb1EEvPKfS1_S1_S1_S1_S1_Pfllllllllllll15HIP_vector_typeIjLj3EES4_fi,"axG",@progbits,_Z20gated_delta_net_cudaILi16ELb1ELb1EEvPKfS1_S1_S1_S1_S1_Pfllllllllllll15HIP_vector_typeIjLj3EES4_fi,comdat
.Lfunc_end0:
	.size	_Z20gated_delta_net_cudaILi16ELb1ELb1EEvPKfS1_S1_S1_S1_S1_Pfllllllllllll15HIP_vector_typeIjLj3EES4_fi, .Lfunc_end0-_Z20gated_delta_net_cudaILi16ELb1ELb1EEvPKfS1_S1_S1_S1_S1_Pfllllllllllll15HIP_vector_typeIjLj3EES4_fi
                                        ; -- End function
	.set _Z20gated_delta_net_cudaILi16ELb1ELb1EEvPKfS1_S1_S1_S1_S1_Pfllllllllllll15HIP_vector_typeIjLj3EES4_fi.num_vgpr, 21
	.set _Z20gated_delta_net_cudaILi16ELb1ELb1EEvPKfS1_S1_S1_S1_S1_Pfllllllllllll15HIP_vector_typeIjLj3EES4_fi.num_agpr, 0
	.set _Z20gated_delta_net_cudaILi16ELb1ELb1EEvPKfS1_S1_S1_S1_S1_Pfllllllllllll15HIP_vector_typeIjLj3EES4_fi.numbered_sgpr, 56
	.set _Z20gated_delta_net_cudaILi16ELb1ELb1EEvPKfS1_S1_S1_S1_S1_Pfllllllllllll15HIP_vector_typeIjLj3EES4_fi.num_named_barrier, 0
	.set _Z20gated_delta_net_cudaILi16ELb1ELb1EEvPKfS1_S1_S1_S1_S1_Pfllllllllllll15HIP_vector_typeIjLj3EES4_fi.private_seg_size, 0
	.set _Z20gated_delta_net_cudaILi16ELb1ELb1EEvPKfS1_S1_S1_S1_S1_Pfllllllllllll15HIP_vector_typeIjLj3EES4_fi.uses_vcc, 1
	.set _Z20gated_delta_net_cudaILi16ELb1ELb1EEvPKfS1_S1_S1_S1_S1_Pfllllllllllll15HIP_vector_typeIjLj3EES4_fi.uses_flat_scratch, 0
	.set _Z20gated_delta_net_cudaILi16ELb1ELb1EEvPKfS1_S1_S1_S1_S1_Pfllllllllllll15HIP_vector_typeIjLj3EES4_fi.has_dyn_sized_stack, 0
	.set _Z20gated_delta_net_cudaILi16ELb1ELb1EEvPKfS1_S1_S1_S1_S1_Pfllllllllllll15HIP_vector_typeIjLj3EES4_fi.has_recursion, 0
	.set _Z20gated_delta_net_cudaILi16ELb1ELb1EEvPKfS1_S1_S1_S1_S1_Pfllllllllllll15HIP_vector_typeIjLj3EES4_fi.has_indirect_call, 0
	.section	.AMDGPU.csdata,"",@progbits
; Kernel info:
; codeLenInByte = 1304
; TotalNumSgprs: 60
; NumVgprs: 21
; ScratchSize: 0
; MemoryBound: 0
; FloatMode: 240
; IeeeMode: 1
; LDSByteSize: 0 bytes/workgroup (compile time only)
; SGPRBlocks: 7
; VGPRBlocks: 5
; NumSGPRsForWavesPerEU: 60
; NumVGPRsForWavesPerEU: 21
; Occupancy: 10
; WaveLimiterHint : 1
; COMPUTE_PGM_RSRC2:SCRATCH_EN: 0
; COMPUTE_PGM_RSRC2:USER_SGPR: 6
; COMPUTE_PGM_RSRC2:TRAP_HANDLER: 0
; COMPUTE_PGM_RSRC2:TGID_X_EN: 1
; COMPUTE_PGM_RSRC2:TGID_Y_EN: 1
; COMPUTE_PGM_RSRC2:TGID_Z_EN: 1
; COMPUTE_PGM_RSRC2:TIDIG_COMP_CNT: 1
	.section	.text._Z20gated_delta_net_cudaILi32ELb1ELb1EEvPKfS1_S1_S1_S1_S1_Pfllllllllllll15HIP_vector_typeIjLj3EES4_fi,"axG",@progbits,_Z20gated_delta_net_cudaILi32ELb1ELb1EEvPKfS1_S1_S1_S1_S1_Pfllllllllllll15HIP_vector_typeIjLj3EES4_fi,comdat
	.protected	_Z20gated_delta_net_cudaILi32ELb1ELb1EEvPKfS1_S1_S1_S1_S1_Pfllllllllllll15HIP_vector_typeIjLj3EES4_fi ; -- Begin function _Z20gated_delta_net_cudaILi32ELb1ELb1EEvPKfS1_S1_S1_S1_S1_Pfllllllllllll15HIP_vector_typeIjLj3EES4_fi
	.globl	_Z20gated_delta_net_cudaILi32ELb1ELb1EEvPKfS1_S1_S1_S1_S1_Pfllllllllllll15HIP_vector_typeIjLj3EES4_fi
	.p2align	8
	.type	_Z20gated_delta_net_cudaILi32ELb1ELb1EEvPKfS1_S1_S1_S1_S1_Pfllllllllllll15HIP_vector_typeIjLj3EES4_fi,@function
_Z20gated_delta_net_cudaILi32ELb1ELb1EEvPKfS1_S1_S1_S1_S1_Pfllllllllllll15HIP_vector_typeIjLj3EES4_fi: ; @_Z20gated_delta_net_cudaILi32ELb1ELb1EEvPKfS1_S1_S1_S1_S1_Pfllllllllllll15HIP_vector_typeIjLj3EES4_fi
; %bb.0:
	s_load_dwordx16 s[12:27], s[4:5], 0x40
	s_waitcnt lgkmcnt(0)
	v_cmp_lt_i64_e64 s[0:1], s[12:13], 1
	s_and_b64 vcc, exec, s[0:1]
	s_cbranch_vccnz .LBB1_7
; %bb.1:
	s_load_dwordx16 s[36:51], s[4:5], 0x0
	s_load_dwordx4 s[0:3], s[4:5], 0x80
	s_load_dwordx2 s[30:31], s[4:5], 0x90
	s_mov_b32 s29, 0
	v_lshlrev_b32_e32 v17, 2, v0
	s_waitcnt lgkmcnt(0)
	s_mul_i32 s9, s50, s15
	s_mul_hi_u32 s10, s50, s14
	s_mul_i32 s11, s51, s14
	s_add_i32 s9, s10, s9
	s_add_i32 s15, s9, s11
	s_mul_i32 s9, s51, s7
	s_mul_hi_u32 s10, s50, s7
	s_add_i32 s35, s10, s9
	s_mul_i32 s34, s50, s7
	s_lshl_b64 s[10:11], s[34:35], 12
	s_add_u32 s9, s46, s10
	s_addc_u32 s33, s47, s11
	s_load_dwordx2 s[10:11], s[4:5], 0xb0
	s_load_dword s46, s[4:5], 0xc4
	s_lshl_b32 s28, s6, 10
	s_lshl_b64 s[28:29], s[28:29], 2
	s_add_u32 s9, s9, s28
	s_addc_u32 s28, s33, s29
	s_waitcnt lgkmcnt(0)
	s_lshr_b32 s29, s46, 16
	s_mul_i32 s8, s8, s29
	v_add_u32_e32 v1, s8, v1
	v_lshlrev_b32_e32 v3, 5, v1
	v_ashrrev_i32_e32 v4, 31, v3
	v_lshlrev_b64 v[4:5], 2, v[3:4]
	v_mov_b32_e32 v2, s28
	v_add_co_u32_e32 v4, vcc, s9, v4
	v_addc_co_u32_e32 v2, vcc, v2, v5, vcc
	v_add_co_u32_e32 v4, vcc, v4, v17
	v_addc_co_u32_e32 v5, vcc, 0, v2, vcc
	global_load_dword v8, v[4:5], off
	s_mul_i32 s9, s34, s13
	s_mul_hi_u32 s28, s34, s12
	s_mul_i32 s8, s35, s12
	s_add_i32 s9, s28, s9
	s_add_i32 s9, s9, s8
	s_mul_i32 s8, s34, s12
	s_add_u32 s8, s8, s6
	s_addc_u32 s9, s9, 0
	v_mbcnt_lo_u32_b32 v2, -1, 0
	s_mul_i32 s14, s50, s14
	s_lshl_b64 s[28:29], s[8:9], 7
	s_load_dwordx4 s[52:55], s[4:5], 0x98
	v_mbcnt_hi_u32_b32 v2, -1, v2
	s_add_u32 s8, s34, s6
	s_mul_i32 s33, s14, s13
	s_mul_hi_u32 s34, s14, s12
	v_and_b32_e32 v4, 0x60, v2
	s_addc_u32 s9, s35, 0
	s_add_i32 s33, s34, s33
	s_mul_i32 s34, s15, s12
	s_load_dword s4, s[4:5], 0xa8
	v_add_u32_e32 v4, 32, v4
	v_xor_b32_e32 v5, 16, v2
	s_add_i32 s35, s33, s34
	s_mul_i32 s34, s14, s12
	v_cmp_lt_i32_e32 vcc, v5, v4
	s_lshl_b64 s[34:35], s[34:35], 7
	v_cndmask_b32_e32 v5, v2, v5, vcc
	s_add_u32 s33, s48, s34
	s_waitcnt lgkmcnt(0)
	s_mul_hi_u32 s5, s55, s7
	v_lshlrev_b32_e32 v9, 2, v5
	v_xor_b32_e32 v5, 8, v2
	s_addc_u32 s34, s49, s35
	s_add_i32 s5, s7, s5
	v_cmp_lt_i32_e32 vcc, v5, v4
	s_lshr_b32 s35, s5, s4
	s_mul_hi_u32 s4, s52, s6
	v_cndmask_b32_e32 v5, v2, v5, vcc
	s_add_i32 s4, s6, s4
	v_lshlrev_b32_e32 v10, 2, v5
	v_xor_b32_e32 v5, 4, v2
	s_lshr_b32 s4, s4, s53
	v_cmp_lt_i32_e32 vcc, v5, v4
	s_mul_i32 s4, s4, s54
	v_cndmask_b32_e32 v5, v2, v5, vcc
	s_sub_i32 s46, s6, s4
	s_mul_i32 s4, s27, s7
	s_mul_hi_u32 s5, s26, s7
	v_lshlrev_b32_e32 v11, 2, v5
	v_xor_b32_e32 v5, 2, v2
	s_add_i32 s5, s5, s4
	s_mul_i32 s4, s26, s7
	v_cmp_lt_i32_e32 vcc, v5, v4
	s_lshl_b64 s[4:5], s[4:5], 2
	v_cndmask_b32_e32 v5, v2, v5, vcc
	s_add_u32 s26, s40, s4
	v_lshlrev_b32_e32 v12, 2, v5
	v_xor_b32_e32 v5, 1, v2
	s_addc_u32 s27, s41, s5
	s_mul_i32 s4, s23, s6
	s_mul_hi_u32 s5, s22, s6
	v_cmp_lt_i32_e32 vcc, v5, v4
	s_add_i32 s5, s5, s4
	s_mul_i32 s4, s22, s6
	v_cndmask_b32_e32 v2, v2, v5, vcc
	s_lshl_b64 s[4:5], s[4:5], 2
	v_lshlrev_b32_e32 v13, 2, v2
	v_ashrrev_i32_e32 v2, 31, v1
	s_add_u32 s4, s26, s4
	s_mul_i32 s22, s31, s7
	s_mul_hi_u32 s23, s30, s7
	v_lshlrev_b64 v[5:6], 2, v[1:2]
	s_addc_u32 s5, s27, s5
	s_add_i32 s23, s23, s22
	s_mul_i32 s22, s30, s7
	s_mul_i32 s1, s1, s6
	s_mul_hi_u32 s7, s0, s6
	v_add_u32_e32 v3, v3, v0
	s_add_i32 s27, s7, s1
	s_mul_i32 s30, s0, s6
	v_mov_b32_e32 v2, s5
	v_add_co_u32_e32 v1, vcc, s4, v5
	s_lshl_b64 s[4:5], s[14:15], 10
	s_lshl_b64 s[6:7], s[8:9], 12
	v_ashrrev_i32_e32 v4, 31, v3
	s_add_u32 s6, s33, s6
	v_lshlrev_b64 v[3:4], 2, v[3:4]
	v_addc_co_u32_e32 v2, vcc, v2, v6, vcc
	s_addc_u32 s7, s34, s7
	v_cmp_eq_u32_e64 s[0:1], 0, v0
	v_mov_b32_e32 v14, s7
	v_add_co_u32_e32 v0, vcc, s6, v3
	s_mul_i32 s6, s21, s35
	s_mul_hi_u32 s7, s20, s35
	s_mul_i32 s8, s17, s46
	s_mul_hi_u32 s9, s16, s46
	s_add_i32 s7, s7, s6
	s_mul_i32 s6, s20, s35
	s_add_i32 s9, s9, s8
	s_mul_i32 s8, s16, s46
	s_add_i32 s26, s12, -1
	s_lshl_b64 s[6:7], s[6:7], 2
	s_lshl_b64 s[8:9], s[8:9], 2
	s_add_u32 s6, s6, s8
	v_addc_co_u32_e32 v14, vcc, v14, v4, vcc
	s_addc_u32 s7, s7, s9
	v_mov_b32_e32 v3, s7
	v_add_co_u32_e32 v15, vcc, s6, v17
	s_lshl_b64 s[6:7], s[18:19], 2
	s_lshl_b64 s[8:9], s[24:25], 2
	s_add_u32 s18, s22, s30
	s_addc_u32 s19, s23, s27
	s_lshl_b64 s[14:15], s[18:19], 2
	s_add_u32 s14, s44, s14
	s_addc_u32 s15, s45, s15
	s_lshl_b64 s[16:17], s[2:3], 2
	s_lshl_b64 s[18:19], s[18:19], 7
	s_add_u32 s18, s42, s18
	v_addc_co_u32_e32 v16, vcc, 0, v3, vcc
	s_addc_u32 s19, s43, s19
	v_mov_b32_e32 v4, s19
	v_add_co_u32_e32 v3, vcc, s18, v17
	s_lshl_b64 s[18:19], s[2:3], 7
	s_add_u32 s2, s48, s28
	v_addc_co_u32_e32 v4, vcc, 0, v4, vcc
	s_addc_u32 s3, s49, s29
	v_mov_b32_e32 v17, s3
	v_add_co_u32_e32 v5, vcc, s2, v5
	v_mov_b32_e32 v7, 0
	v_addc_co_u32_e32 v6, vcc, v17, v6, vcc
	s_lshl_b64 s[20:21], s[50:51], 7
	s_mov_b64 s[22:23], 0
	s_mov_b32 s24, 0x3fb8aa3b
	s_mov_b32 s25, 0xc2ce8ed0
	;; [unrolled: 1-line block ×3, first 2 shown]
	v_mov_b32_e32 v17, 0x7f800000
	s_branch .LBB1_3
.LBB1_2:                                ;   in Loop: Header=BB1_3 Depth=1
	v_mov_b32_e32 v18, s7
	v_add_co_u32_e32 v15, vcc, s6, v15
	v_addc_co_u32_e32 v16, vcc, v16, v18, vcc
	v_mov_b32_e32 v18, s9
	v_add_co_u32_e32 v1, vcc, s8, v1
	v_addc_co_u32_e32 v2, vcc, v2, v18, vcc
	s_add_u32 s22, s22, 1
	v_mov_b32_e32 v18, s19
	v_add_co_u32_e32 v3, vcc, s18, v3
	s_addc_u32 s23, s23, 0
	v_addc_co_u32_e32 v4, vcc, v4, v18, vcc
	s_waitcnt lgkmcnt(0)
	v_mov_b32_e32 v18, s22
	v_mov_b32_e32 v19, s23
	s_add_i32 s26, s26, -1
	v_cmp_le_i64_e32 vcc, s[12:13], v[18:19]
	s_add_u32 s14, s14, s16
	v_mov_b32_e32 v20, s21
	v_add_co_u32_e64 v5, s[2:3], s20, v5
	s_addc_u32 s15, s15, s17
	v_addc_co_u32_e64 v6, s[2:3], v6, v20, s[2:3]
	s_cbranch_vccnz .LBB1_7
.LBB1_3:                                ; =>This Inner Loop Header: Depth=1
	v_mov_b32_e32 v19, s39
	v_add_co_u32_e32 v18, vcc, s38, v15
	v_addc_co_u32_e32 v19, vcc, v19, v16, vcc
	global_load_dword v20, v[18:19], off
	global_load_dword v21, v[3:4], off
	s_waitcnt vmcnt(0)
	v_mul_f32_e32 v18, 0x3fb8aa3b, v21
	v_fma_f32 v19, v21, s24, -v18
	v_cmp_ngt_f32_e32 vcc, s25, v21
	v_cmp_nlt_f32_e64 s[2:3], s27, v21
	v_fmac_f32_e32 v19, 0x32a5705f, v21
	v_rndne_f32_e32 v21, v18
	v_sub_f32_e32 v18, v18, v21
	v_add_f32_e32 v18, v18, v19
	v_cvt_i32_f32_e32 v19, v21
	v_exp_f32_e32 v18, v18
	v_ldexp_f32 v18, v18, v19
	v_cndmask_b32_e32 v18, 0, v18, vcc
	v_cndmask_b32_e64 v18, v17, v18, s[2:3]
	v_mul_f32_e32 v8, v8, v18
	v_fma_f32 v18, v20, v8, 0
	ds_bpermute_b32 v19, v9, v18
	s_waitcnt lgkmcnt(0)
	v_add_f32_e32 v18, v18, v19
	ds_bpermute_b32 v19, v10, v18
	s_waitcnt lgkmcnt(0)
	v_add_f32_e32 v18, v18, v19
	;; [unrolled: 3-line block ×5, first 2 shown]
	global_load_dword v19, v[1:2], off
	s_waitcnt vmcnt(0)
	v_sub_f32_e32 v18, v19, v18
	global_load_dword v19, v7, s[14:15]
	s_waitcnt vmcnt(0)
	v_mul_f32_e32 v18, v19, v18
	v_fmac_f32_e32 v8, v20, v18
	v_mov_b32_e32 v19, s37
	v_add_co_u32_e32 v18, vcc, s36, v15
	v_addc_co_u32_e32 v19, vcc, v19, v16, vcc
	global_load_dword v18, v[18:19], off
	s_waitcnt vmcnt(0)
	v_fma_f32 v18, v18, v8, 0
	ds_bpermute_b32 v19, v9, v18
	s_waitcnt lgkmcnt(0)
	v_add_f32_e32 v18, v18, v19
	ds_bpermute_b32 v19, v10, v18
	s_waitcnt lgkmcnt(0)
	v_add_f32_e32 v18, v18, v19
	;; [unrolled: 3-line block ×4, first 2 shown]
	ds_bpermute_b32 v19, v13, v18
	s_and_saveexec_b64 s[2:3], s[0:1]
	s_cbranch_execz .LBB1_5
; %bb.4:                                ;   in Loop: Header=BB1_3 Depth=1
	s_waitcnt lgkmcnt(0)
	v_add_f32_e32 v18, v18, v19
	v_mul_f32_e32 v18, s10, v18
	global_store_dword v[5:6], v18, off
.LBB1_5:                                ;   in Loop: Header=BB1_3 Depth=1
	s_or_b64 exec, exec, s[2:3]
	s_cmp_lt_i32 s26, 0
	s_cselect_b64 s[2:3], -1, 0
	s_cmp_ge_i32 s26, s11
	s_cselect_b64 s[28:29], -1, 0
	s_or_b64 s[2:3], s[2:3], s[28:29]
	s_and_b64 vcc, exec, s[2:3]
	s_cbranch_vccnz .LBB1_2
; %bb.6:                                ;   in Loop: Header=BB1_3 Depth=1
	s_mul_i32 s2, s5, s26
	s_mul_hi_u32 s3, s4, s26
	s_add_i32 s3, s3, s2
	s_mul_i32 s2, s4, s26
	s_lshl_b64 s[2:3], s[2:3], 2
	s_waitcnt lgkmcnt(0)
	v_mov_b32_e32 v19, s3
	v_add_co_u32_e32 v18, vcc, s2, v0
	v_addc_co_u32_e32 v19, vcc, v14, v19, vcc
	global_store_dword v[18:19], v8, off
	s_branch .LBB1_2
.LBB1_7:
	s_endpgm
	.section	.rodata,"a",@progbits
	.p2align	6, 0x0
	.amdhsa_kernel _Z20gated_delta_net_cudaILi32ELb1ELb1EEvPKfS1_S1_S1_S1_S1_Pfllllllllllll15HIP_vector_typeIjLj3EES4_fi
		.amdhsa_group_segment_fixed_size 0
		.amdhsa_private_segment_fixed_size 0
		.amdhsa_kernarg_size 440
		.amdhsa_user_sgpr_count 6
		.amdhsa_user_sgpr_private_segment_buffer 1
		.amdhsa_user_sgpr_dispatch_ptr 0
		.amdhsa_user_sgpr_queue_ptr 0
		.amdhsa_user_sgpr_kernarg_segment_ptr 1
		.amdhsa_user_sgpr_dispatch_id 0
		.amdhsa_user_sgpr_flat_scratch_init 0
		.amdhsa_user_sgpr_private_segment_size 0
		.amdhsa_uses_dynamic_stack 0
		.amdhsa_system_sgpr_private_segment_wavefront_offset 0
		.amdhsa_system_sgpr_workgroup_id_x 1
		.amdhsa_system_sgpr_workgroup_id_y 1
		.amdhsa_system_sgpr_workgroup_id_z 1
		.amdhsa_system_sgpr_workgroup_info 0
		.amdhsa_system_vgpr_workitem_id 1
		.amdhsa_next_free_vgpr 22
		.amdhsa_next_free_sgpr 56
		.amdhsa_reserve_vcc 1
		.amdhsa_reserve_flat_scratch 0
		.amdhsa_float_round_mode_32 0
		.amdhsa_float_round_mode_16_64 0
		.amdhsa_float_denorm_mode_32 3
		.amdhsa_float_denorm_mode_16_64 3
		.amdhsa_dx10_clamp 1
		.amdhsa_ieee_mode 1
		.amdhsa_fp16_overflow 0
		.amdhsa_exception_fp_ieee_invalid_op 0
		.amdhsa_exception_fp_denorm_src 0
		.amdhsa_exception_fp_ieee_div_zero 0
		.amdhsa_exception_fp_ieee_overflow 0
		.amdhsa_exception_fp_ieee_underflow 0
		.amdhsa_exception_fp_ieee_inexact 0
		.amdhsa_exception_int_div_zero 0
	.end_amdhsa_kernel
	.section	.text._Z20gated_delta_net_cudaILi32ELb1ELb1EEvPKfS1_S1_S1_S1_S1_Pfllllllllllll15HIP_vector_typeIjLj3EES4_fi,"axG",@progbits,_Z20gated_delta_net_cudaILi32ELb1ELb1EEvPKfS1_S1_S1_S1_S1_Pfllllllllllll15HIP_vector_typeIjLj3EES4_fi,comdat
.Lfunc_end1:
	.size	_Z20gated_delta_net_cudaILi32ELb1ELb1EEvPKfS1_S1_S1_S1_S1_Pfllllllllllll15HIP_vector_typeIjLj3EES4_fi, .Lfunc_end1-_Z20gated_delta_net_cudaILi32ELb1ELb1EEvPKfS1_S1_S1_S1_S1_Pfllllllllllll15HIP_vector_typeIjLj3EES4_fi
                                        ; -- End function
	.set _Z20gated_delta_net_cudaILi32ELb1ELb1EEvPKfS1_S1_S1_S1_S1_Pfllllllllllll15HIP_vector_typeIjLj3EES4_fi.num_vgpr, 22
	.set _Z20gated_delta_net_cudaILi32ELb1ELb1EEvPKfS1_S1_S1_S1_S1_Pfllllllllllll15HIP_vector_typeIjLj3EES4_fi.num_agpr, 0
	.set _Z20gated_delta_net_cudaILi32ELb1ELb1EEvPKfS1_S1_S1_S1_S1_Pfllllllllllll15HIP_vector_typeIjLj3EES4_fi.numbered_sgpr, 56
	.set _Z20gated_delta_net_cudaILi32ELb1ELb1EEvPKfS1_S1_S1_S1_S1_Pfllllllllllll15HIP_vector_typeIjLj3EES4_fi.num_named_barrier, 0
	.set _Z20gated_delta_net_cudaILi32ELb1ELb1EEvPKfS1_S1_S1_S1_S1_Pfllllllllllll15HIP_vector_typeIjLj3EES4_fi.private_seg_size, 0
	.set _Z20gated_delta_net_cudaILi32ELb1ELb1EEvPKfS1_S1_S1_S1_S1_Pfllllllllllll15HIP_vector_typeIjLj3EES4_fi.uses_vcc, 1
	.set _Z20gated_delta_net_cudaILi32ELb1ELb1EEvPKfS1_S1_S1_S1_S1_Pfllllllllllll15HIP_vector_typeIjLj3EES4_fi.uses_flat_scratch, 0
	.set _Z20gated_delta_net_cudaILi32ELb1ELb1EEvPKfS1_S1_S1_S1_S1_Pfllllllllllll15HIP_vector_typeIjLj3EES4_fi.has_dyn_sized_stack, 0
	.set _Z20gated_delta_net_cudaILi32ELb1ELb1EEvPKfS1_S1_S1_S1_S1_Pfllllllllllll15HIP_vector_typeIjLj3EES4_fi.has_recursion, 0
	.set _Z20gated_delta_net_cudaILi32ELb1ELb1EEvPKfS1_S1_S1_S1_S1_Pfllllllllllll15HIP_vector_typeIjLj3EES4_fi.has_indirect_call, 0
	.section	.AMDGPU.csdata,"",@progbits
; Kernel info:
; codeLenInByte = 1352
; TotalNumSgprs: 60
; NumVgprs: 22
; ScratchSize: 0
; MemoryBound: 0
; FloatMode: 240
; IeeeMode: 1
; LDSByteSize: 0 bytes/workgroup (compile time only)
; SGPRBlocks: 7
; VGPRBlocks: 5
; NumSGPRsForWavesPerEU: 60
; NumVGPRsForWavesPerEU: 22
; Occupancy: 10
; WaveLimiterHint : 1
; COMPUTE_PGM_RSRC2:SCRATCH_EN: 0
; COMPUTE_PGM_RSRC2:USER_SGPR: 6
; COMPUTE_PGM_RSRC2:TRAP_HANDLER: 0
; COMPUTE_PGM_RSRC2:TGID_X_EN: 1
; COMPUTE_PGM_RSRC2:TGID_Y_EN: 1
; COMPUTE_PGM_RSRC2:TGID_Z_EN: 1
; COMPUTE_PGM_RSRC2:TIDIG_COMP_CNT: 1
	.section	.text._Z20gated_delta_net_cudaILi64ELb1ELb1EEvPKfS1_S1_S1_S1_S1_Pfllllllllllll15HIP_vector_typeIjLj3EES4_fi,"axG",@progbits,_Z20gated_delta_net_cudaILi64ELb1ELb1EEvPKfS1_S1_S1_S1_S1_Pfllllllllllll15HIP_vector_typeIjLj3EES4_fi,comdat
	.protected	_Z20gated_delta_net_cudaILi64ELb1ELb1EEvPKfS1_S1_S1_S1_S1_Pfllllllllllll15HIP_vector_typeIjLj3EES4_fi ; -- Begin function _Z20gated_delta_net_cudaILi64ELb1ELb1EEvPKfS1_S1_S1_S1_S1_Pfllllllllllll15HIP_vector_typeIjLj3EES4_fi
	.globl	_Z20gated_delta_net_cudaILi64ELb1ELb1EEvPKfS1_S1_S1_S1_S1_Pfllllllllllll15HIP_vector_typeIjLj3EES4_fi
	.p2align	8
	.type	_Z20gated_delta_net_cudaILi64ELb1ELb1EEvPKfS1_S1_S1_S1_S1_Pfllllllllllll15HIP_vector_typeIjLj3EES4_fi,@function
_Z20gated_delta_net_cudaILi64ELb1ELb1EEvPKfS1_S1_S1_S1_S1_Pfllllllllllll15HIP_vector_typeIjLj3EES4_fi: ; @_Z20gated_delta_net_cudaILi64ELb1ELb1EEvPKfS1_S1_S1_S1_S1_Pfllllllllllll15HIP_vector_typeIjLj3EES4_fi
; %bb.0:
	s_load_dwordx16 s[12:27], s[4:5], 0x40
	s_waitcnt lgkmcnt(0)
	v_cmp_lt_i64_e64 s[0:1], s[12:13], 1
	s_and_b64 vcc, exec, s[0:1]
	s_cbranch_vccnz .LBB2_7
; %bb.1:
	s_load_dwordx16 s[36:51], s[4:5], 0x0
	s_load_dwordx4 s[0:3], s[4:5], 0x80
	s_load_dwordx2 s[30:31], s[4:5], 0x90
	s_mov_b32 s29, 0
	v_lshlrev_b32_e32 v6, 2, v0
	s_waitcnt lgkmcnt(0)
	s_mul_i32 s9, s50, s15
	s_mul_hi_u32 s10, s50, s14
	s_mul_i32 s11, s51, s14
	s_add_i32 s9, s10, s9
	s_add_i32 s15, s9, s11
	s_mul_i32 s9, s51, s7
	s_mul_hi_u32 s10, s50, s7
	s_add_i32 s35, s10, s9
	s_mul_i32 s34, s50, s7
	s_lshl_b64 s[10:11], s[34:35], 14
	s_add_u32 s9, s46, s10
	s_addc_u32 s33, s47, s11
	s_load_dwordx2 s[10:11], s[4:5], 0xb0
	s_load_dword s46, s[4:5], 0xc4
	s_lshl_b32 s28, s6, 12
	s_lshl_b64 s[28:29], s[28:29], 2
	s_add_u32 s9, s9, s28
	s_addc_u32 s28, s33, s29
	s_waitcnt lgkmcnt(0)
	s_lshr_b32 s29, s46, 16
	s_mul_i32 s8, s8, s29
	v_add_u32_e32 v1, s8, v1
	v_lshlrev_b32_e32 v3, 6, v1
	v_ashrrev_i32_e32 v4, 31, v3
	v_lshlrev_b64 v[4:5], 2, v[3:4]
	v_mov_b32_e32 v2, s28
	v_add_co_u32_e32 v4, vcc, s9, v4
	v_addc_co_u32_e32 v2, vcc, v2, v5, vcc
	v_add_co_u32_e32 v4, vcc, v4, v6
	v_addc_co_u32_e32 v5, vcc, 0, v2, vcc
	global_load_dword v8, v[4:5], off
	s_mul_i32 s9, s34, s13
	s_mul_hi_u32 s28, s34, s12
	s_mul_i32 s8, s35, s12
	s_add_i32 s9, s28, s9
	v_mbcnt_lo_u32_b32 v2, -1, 0
	s_add_i32 s9, s9, s8
	s_mul_i32 s8, s34, s12
	v_mbcnt_hi_u32_b32 v2, -1, v2
	s_add_u32 s8, s8, s6
	v_and_b32_e32 v4, 64, v2
	s_addc_u32 s9, s9, 0
	v_add_u32_e32 v4, 64, v4
	v_xor_b32_e32 v5, 32, v2
	s_mul_i32 s14, s50, s14
	s_lshl_b64 s[28:29], s[8:9], 8
	s_load_dwordx4 s[52:55], s[4:5], 0x98
	v_cmp_lt_i32_e32 vcc, v5, v4
	s_add_u32 s8, s34, s6
	s_mul_i32 s33, s14, s13
	s_mul_hi_u32 s34, s14, s12
	v_cndmask_b32_e32 v5, v2, v5, vcc
	s_addc_u32 s9, s35, 0
	s_add_i32 s33, s34, s33
	s_mul_i32 s34, s15, s12
	s_load_dword s4, s[4:5], 0xa8
	v_lshlrev_b32_e32 v9, 2, v5
	v_xor_b32_e32 v5, 16, v2
	s_add_i32 s35, s33, s34
	s_mul_i32 s34, s14, s12
	v_cmp_lt_i32_e32 vcc, v5, v4
	s_lshl_b64 s[34:35], s[34:35], 8
	v_cndmask_b32_e32 v5, v2, v5, vcc
	s_add_u32 s33, s48, s34
	s_waitcnt lgkmcnt(0)
	s_mul_hi_u32 s5, s55, s7
	v_lshlrev_b32_e32 v10, 2, v5
	v_xor_b32_e32 v5, 8, v2
	s_addc_u32 s34, s49, s35
	s_add_i32 s5, s7, s5
	v_cmp_lt_i32_e32 vcc, v5, v4
	s_lshr_b32 s35, s5, s4
	s_mul_hi_u32 s4, s52, s6
	v_cndmask_b32_e32 v5, v2, v5, vcc
	s_add_i32 s4, s6, s4
	v_lshlrev_b32_e32 v11, 2, v5
	v_xor_b32_e32 v5, 4, v2
	s_lshr_b32 s4, s4, s53
	v_cmp_lt_i32_e32 vcc, v5, v4
	s_mul_i32 s4, s4, s54
	v_cndmask_b32_e32 v5, v2, v5, vcc
	s_sub_i32 s46, s6, s4
	s_mul_i32 s4, s27, s7
	s_mul_hi_u32 s5, s26, s7
	v_lshlrev_b32_e32 v12, 2, v5
	v_xor_b32_e32 v5, 2, v2
	s_add_i32 s5, s5, s4
	s_mul_i32 s4, s26, s7
	v_cmp_lt_i32_e32 vcc, v5, v4
	s_lshl_b64 s[4:5], s[4:5], 2
	v_cndmask_b32_e32 v5, v2, v5, vcc
	s_add_u32 s26, s40, s4
	v_lshlrev_b32_e32 v13, 2, v5
	v_xor_b32_e32 v5, 1, v2
	s_addc_u32 s27, s41, s5
	s_mul_i32 s4, s23, s6
	s_mul_hi_u32 s5, s22, s6
	v_cmp_lt_i32_e32 vcc, v5, v4
	s_add_i32 s5, s5, s4
	s_mul_i32 s4, s22, s6
	v_cndmask_b32_e32 v2, v2, v5, vcc
	s_lshl_b64 s[4:5], s[4:5], 2
	v_lshlrev_b32_e32 v14, 2, v2
	v_ashrrev_i32_e32 v2, 31, v1
	s_add_u32 s4, s26, s4
	s_mul_i32 s22, s31, s7
	s_mul_hi_u32 s23, s30, s7
	v_lshlrev_b64 v[4:5], 2, v[1:2]
	s_addc_u32 s5, s27, s5
	s_add_i32 s23, s23, s22
	s_mul_i32 s22, s30, s7
	s_mul_i32 s1, s1, s6
	s_mul_hi_u32 s7, s0, s6
	v_add_u32_e32 v15, v3, v0
	s_add_i32 s27, s7, s1
	s_mul_i32 s30, s0, s6
	v_mov_b32_e32 v2, s5
	v_add_co_u32_e32 v1, vcc, s4, v4
	s_lshl_b64 s[4:5], s[14:15], 12
	s_lshl_b64 s[6:7], s[8:9], 14
	v_ashrrev_i32_e32 v16, 31, v15
	s_add_u32 s6, s33, s6
	v_lshlrev_b64 v[15:16], 2, v[15:16]
	v_addc_co_u32_e32 v2, vcc, v2, v5, vcc
	s_addc_u32 s7, s34, s7
	v_cmp_eq_u32_e64 s[0:1], 0, v0
	v_mov_b32_e32 v3, s7
	v_add_co_u32_e32 v0, vcc, s6, v15
	s_mul_i32 s6, s21, s35
	s_mul_hi_u32 s7, s20, s35
	s_mul_i32 s8, s17, s46
	s_mul_hi_u32 s9, s16, s46
	s_add_i32 s7, s7, s6
	s_mul_i32 s6, s20, s35
	s_add_i32 s9, s9, s8
	s_mul_i32 s8, s16, s46
	s_add_i32 s26, s12, -1
	s_lshl_b64 s[6:7], s[6:7], 2
	s_lshl_b64 s[8:9], s[8:9], 2
	s_add_u32 s6, s6, s8
	v_addc_co_u32_e32 v15, vcc, v3, v16, vcc
	s_addc_u32 s7, s7, s9
	v_mov_b32_e32 v3, s7
	v_add_co_u32_e32 v16, vcc, s6, v6
	s_lshl_b64 s[6:7], s[18:19], 2
	s_lshl_b64 s[8:9], s[24:25], 2
	s_add_u32 s18, s22, s30
	s_addc_u32 s19, s23, s27
	s_lshl_b64 s[14:15], s[18:19], 2
	s_add_u32 s14, s44, s14
	s_addc_u32 s15, s45, s15
	s_lshl_b64 s[16:17], s[2:3], 2
	s_lshl_b64 s[18:19], s[18:19], 8
	s_add_u32 s20, s42, s18
	s_addc_u32 s21, s43, s19
	s_lshl_b64 s[18:19], s[2:3], 8
	s_add_u32 s2, s48, s28
	v_addc_co_u32_e32 v17, vcc, 0, v3, vcc
	s_addc_u32 s3, s49, s29
	v_mov_b32_e32 v18, s3
	v_add_co_u32_e32 v3, vcc, s2, v4
	v_addc_co_u32_e32 v4, vcc, v18, v5, vcc
	v_mov_b32_e32 v18, s21
	v_add_co_u32_e32 v5, vcc, s20, v6
	v_mov_b32_e32 v7, 0
	v_addc_co_u32_e32 v6, vcc, 0, v18, vcc
	s_lshl_b64 s[20:21], s[50:51], 8
	s_mov_b64 s[22:23], 0
	s_mov_b32 s24, 0x3fb8aa3b
	s_mov_b32 s25, 0xc2ce8ed0
	;; [unrolled: 1-line block ×3, first 2 shown]
	v_mov_b32_e32 v18, 0x7f800000
	s_branch .LBB2_3
.LBB2_2:                                ;   in Loop: Header=BB2_3 Depth=1
	v_mov_b32_e32 v19, s7
	v_add_co_u32_e32 v16, vcc, s6, v16
	v_addc_co_u32_e32 v17, vcc, v17, v19, vcc
	v_mov_b32_e32 v19, s9
	v_add_co_u32_e32 v1, vcc, s8, v1
	v_addc_co_u32_e32 v2, vcc, v2, v19, vcc
	s_add_u32 s22, s22, 1
	v_mov_b32_e32 v19, s19
	v_add_co_u32_e32 v5, vcc, s18, v5
	s_addc_u32 s23, s23, 0
	v_addc_co_u32_e32 v6, vcc, v6, v19, vcc
	s_waitcnt lgkmcnt(0)
	v_mov_b32_e32 v19, s22
	v_mov_b32_e32 v20, s23
	s_add_i32 s26, s26, -1
	v_cmp_le_i64_e32 vcc, s[12:13], v[19:20]
	s_add_u32 s14, s14, s16
	v_mov_b32_e32 v21, s21
	v_add_co_u32_e64 v3, s[2:3], s20, v3
	s_addc_u32 s15, s15, s17
	v_addc_co_u32_e64 v4, s[2:3], v4, v21, s[2:3]
	s_cbranch_vccnz .LBB2_7
.LBB2_3:                                ; =>This Inner Loop Header: Depth=1
	v_mov_b32_e32 v20, s39
	v_add_co_u32_e32 v19, vcc, s38, v16
	v_addc_co_u32_e32 v20, vcc, v20, v17, vcc
	global_load_dword v21, v[19:20], off
	global_load_dword v22, v[5:6], off
	s_waitcnt vmcnt(0)
	v_mul_f32_e32 v19, 0x3fb8aa3b, v22
	v_fma_f32 v20, v22, s24, -v19
	v_cmp_ngt_f32_e32 vcc, s25, v22
	v_cmp_nlt_f32_e64 s[2:3], s27, v22
	v_fmac_f32_e32 v20, 0x32a5705f, v22
	v_rndne_f32_e32 v22, v19
	v_sub_f32_e32 v19, v19, v22
	v_add_f32_e32 v19, v19, v20
	v_cvt_i32_f32_e32 v20, v22
	v_exp_f32_e32 v19, v19
	v_ldexp_f32 v19, v19, v20
	v_cndmask_b32_e32 v19, 0, v19, vcc
	v_cndmask_b32_e64 v19, v18, v19, s[2:3]
	v_mul_f32_e32 v8, v8, v19
	v_fma_f32 v19, v21, v8, 0
	ds_bpermute_b32 v20, v9, v19
	s_waitcnt lgkmcnt(0)
	v_add_f32_e32 v19, v19, v20
	ds_bpermute_b32 v20, v10, v19
	s_waitcnt lgkmcnt(0)
	v_add_f32_e32 v19, v19, v20
	;; [unrolled: 3-line block ×6, first 2 shown]
	global_load_dword v20, v[1:2], off
	s_waitcnt vmcnt(0)
	v_sub_f32_e32 v19, v20, v19
	global_load_dword v20, v7, s[14:15]
	s_waitcnt vmcnt(0)
	v_mul_f32_e32 v19, v20, v19
	v_fmac_f32_e32 v8, v21, v19
	v_mov_b32_e32 v20, s37
	v_add_co_u32_e32 v19, vcc, s36, v16
	v_addc_co_u32_e32 v20, vcc, v20, v17, vcc
	global_load_dword v19, v[19:20], off
	s_waitcnt vmcnt(0)
	v_fma_f32 v19, v19, v8, 0
	ds_bpermute_b32 v20, v9, v19
	s_waitcnt lgkmcnt(0)
	v_add_f32_e32 v19, v19, v20
	ds_bpermute_b32 v20, v10, v19
	s_waitcnt lgkmcnt(0)
	v_add_f32_e32 v19, v19, v20
	;; [unrolled: 3-line block ×5, first 2 shown]
	ds_bpermute_b32 v20, v14, v19
	s_and_saveexec_b64 s[2:3], s[0:1]
	s_cbranch_execz .LBB2_5
; %bb.4:                                ;   in Loop: Header=BB2_3 Depth=1
	s_waitcnt lgkmcnt(0)
	v_add_f32_e32 v19, v19, v20
	v_mul_f32_e32 v19, s10, v19
	global_store_dword v[3:4], v19, off
.LBB2_5:                                ;   in Loop: Header=BB2_3 Depth=1
	s_or_b64 exec, exec, s[2:3]
	s_cmp_lt_i32 s26, 0
	s_cselect_b64 s[2:3], -1, 0
	s_cmp_ge_i32 s26, s11
	s_cselect_b64 s[28:29], -1, 0
	s_or_b64 s[2:3], s[2:3], s[28:29]
	s_and_b64 vcc, exec, s[2:3]
	s_cbranch_vccnz .LBB2_2
; %bb.6:                                ;   in Loop: Header=BB2_3 Depth=1
	s_mul_i32 s2, s5, s26
	s_mul_hi_u32 s3, s4, s26
	s_add_i32 s3, s3, s2
	s_mul_i32 s2, s4, s26
	s_lshl_b64 s[2:3], s[2:3], 2
	s_waitcnt lgkmcnt(0)
	v_mov_b32_e32 v20, s3
	v_add_co_u32_e32 v19, vcc, s2, v0
	v_addc_co_u32_e32 v20, vcc, v15, v20, vcc
	global_store_dword v[19:20], v8, off
	s_branch .LBB2_2
.LBB2_7:
	s_endpgm
	.section	.rodata,"a",@progbits
	.p2align	6, 0x0
	.amdhsa_kernel _Z20gated_delta_net_cudaILi64ELb1ELb1EEvPKfS1_S1_S1_S1_S1_Pfllllllllllll15HIP_vector_typeIjLj3EES4_fi
		.amdhsa_group_segment_fixed_size 0
		.amdhsa_private_segment_fixed_size 0
		.amdhsa_kernarg_size 440
		.amdhsa_user_sgpr_count 6
		.amdhsa_user_sgpr_private_segment_buffer 1
		.amdhsa_user_sgpr_dispatch_ptr 0
		.amdhsa_user_sgpr_queue_ptr 0
		.amdhsa_user_sgpr_kernarg_segment_ptr 1
		.amdhsa_user_sgpr_dispatch_id 0
		.amdhsa_user_sgpr_flat_scratch_init 0
		.amdhsa_user_sgpr_private_segment_size 0
		.amdhsa_uses_dynamic_stack 0
		.amdhsa_system_sgpr_private_segment_wavefront_offset 0
		.amdhsa_system_sgpr_workgroup_id_x 1
		.amdhsa_system_sgpr_workgroup_id_y 1
		.amdhsa_system_sgpr_workgroup_id_z 1
		.amdhsa_system_sgpr_workgroup_info 0
		.amdhsa_system_vgpr_workitem_id 1
		.amdhsa_next_free_vgpr 23
		.amdhsa_next_free_sgpr 56
		.amdhsa_reserve_vcc 1
		.amdhsa_reserve_flat_scratch 0
		.amdhsa_float_round_mode_32 0
		.amdhsa_float_round_mode_16_64 0
		.amdhsa_float_denorm_mode_32 3
		.amdhsa_float_denorm_mode_16_64 3
		.amdhsa_dx10_clamp 1
		.amdhsa_ieee_mode 1
		.amdhsa_fp16_overflow 0
		.amdhsa_exception_fp_ieee_invalid_op 0
		.amdhsa_exception_fp_denorm_src 0
		.amdhsa_exception_fp_ieee_div_zero 0
		.amdhsa_exception_fp_ieee_overflow 0
		.amdhsa_exception_fp_ieee_underflow 0
		.amdhsa_exception_fp_ieee_inexact 0
		.amdhsa_exception_int_div_zero 0
	.end_amdhsa_kernel
	.section	.text._Z20gated_delta_net_cudaILi64ELb1ELb1EEvPKfS1_S1_S1_S1_S1_Pfllllllllllll15HIP_vector_typeIjLj3EES4_fi,"axG",@progbits,_Z20gated_delta_net_cudaILi64ELb1ELb1EEvPKfS1_S1_S1_S1_S1_Pfllllllllllll15HIP_vector_typeIjLj3EES4_fi,comdat
.Lfunc_end2:
	.size	_Z20gated_delta_net_cudaILi64ELb1ELb1EEvPKfS1_S1_S1_S1_S1_Pfllllllllllll15HIP_vector_typeIjLj3EES4_fi, .Lfunc_end2-_Z20gated_delta_net_cudaILi64ELb1ELb1EEvPKfS1_S1_S1_S1_S1_Pfllllllllllll15HIP_vector_typeIjLj3EES4_fi
                                        ; -- End function
	.set _Z20gated_delta_net_cudaILi64ELb1ELb1EEvPKfS1_S1_S1_S1_S1_Pfllllllllllll15HIP_vector_typeIjLj3EES4_fi.num_vgpr, 23
	.set _Z20gated_delta_net_cudaILi64ELb1ELb1EEvPKfS1_S1_S1_S1_S1_Pfllllllllllll15HIP_vector_typeIjLj3EES4_fi.num_agpr, 0
	.set _Z20gated_delta_net_cudaILi64ELb1ELb1EEvPKfS1_S1_S1_S1_S1_Pfllllllllllll15HIP_vector_typeIjLj3EES4_fi.numbered_sgpr, 56
	.set _Z20gated_delta_net_cudaILi64ELb1ELb1EEvPKfS1_S1_S1_S1_S1_Pfllllllllllll15HIP_vector_typeIjLj3EES4_fi.num_named_barrier, 0
	.set _Z20gated_delta_net_cudaILi64ELb1ELb1EEvPKfS1_S1_S1_S1_S1_Pfllllllllllll15HIP_vector_typeIjLj3EES4_fi.private_seg_size, 0
	.set _Z20gated_delta_net_cudaILi64ELb1ELb1EEvPKfS1_S1_S1_S1_S1_Pfllllllllllll15HIP_vector_typeIjLj3EES4_fi.uses_vcc, 1
	.set _Z20gated_delta_net_cudaILi64ELb1ELb1EEvPKfS1_S1_S1_S1_S1_Pfllllllllllll15HIP_vector_typeIjLj3EES4_fi.uses_flat_scratch, 0
	.set _Z20gated_delta_net_cudaILi64ELb1ELb1EEvPKfS1_S1_S1_S1_S1_Pfllllllllllll15HIP_vector_typeIjLj3EES4_fi.has_dyn_sized_stack, 0
	.set _Z20gated_delta_net_cudaILi64ELb1ELb1EEvPKfS1_S1_S1_S1_S1_Pfllllllllllll15HIP_vector_typeIjLj3EES4_fi.has_recursion, 0
	.set _Z20gated_delta_net_cudaILi64ELb1ELb1EEvPKfS1_S1_S1_S1_S1_Pfllllllllllll15HIP_vector_typeIjLj3EES4_fi.has_indirect_call, 0
	.section	.AMDGPU.csdata,"",@progbits
; Kernel info:
; codeLenInByte = 1396
; TotalNumSgprs: 60
; NumVgprs: 23
; ScratchSize: 0
; MemoryBound: 0
; FloatMode: 240
; IeeeMode: 1
; LDSByteSize: 0 bytes/workgroup (compile time only)
; SGPRBlocks: 7
; VGPRBlocks: 5
; NumSGPRsForWavesPerEU: 60
; NumVGPRsForWavesPerEU: 23
; Occupancy: 10
; WaveLimiterHint : 1
; COMPUTE_PGM_RSRC2:SCRATCH_EN: 0
; COMPUTE_PGM_RSRC2:USER_SGPR: 6
; COMPUTE_PGM_RSRC2:TRAP_HANDLER: 0
; COMPUTE_PGM_RSRC2:TGID_X_EN: 1
; COMPUTE_PGM_RSRC2:TGID_Y_EN: 1
; COMPUTE_PGM_RSRC2:TGID_Z_EN: 1
; COMPUTE_PGM_RSRC2:TIDIG_COMP_CNT: 1
	.section	.text._Z20gated_delta_net_cudaILi128ELb1ELb1EEvPKfS1_S1_S1_S1_S1_Pfllllllllllll15HIP_vector_typeIjLj3EES4_fi,"axG",@progbits,_Z20gated_delta_net_cudaILi128ELb1ELb1EEvPKfS1_S1_S1_S1_S1_Pfllllllllllll15HIP_vector_typeIjLj3EES4_fi,comdat
	.protected	_Z20gated_delta_net_cudaILi128ELb1ELb1EEvPKfS1_S1_S1_S1_S1_Pfllllllllllll15HIP_vector_typeIjLj3EES4_fi ; -- Begin function _Z20gated_delta_net_cudaILi128ELb1ELb1EEvPKfS1_S1_S1_S1_S1_Pfllllllllllll15HIP_vector_typeIjLj3EES4_fi
	.globl	_Z20gated_delta_net_cudaILi128ELb1ELb1EEvPKfS1_S1_S1_S1_S1_Pfllllllllllll15HIP_vector_typeIjLj3EES4_fi
	.p2align	8
	.type	_Z20gated_delta_net_cudaILi128ELb1ELb1EEvPKfS1_S1_S1_S1_S1_Pfllllllllllll15HIP_vector_typeIjLj3EES4_fi,@function
_Z20gated_delta_net_cudaILi128ELb1ELb1EEvPKfS1_S1_S1_S1_S1_Pfllllllllllll15HIP_vector_typeIjLj3EES4_fi: ; @_Z20gated_delta_net_cudaILi128ELb1ELb1EEvPKfS1_S1_S1_S1_S1_Pfllllllllllll15HIP_vector_typeIjLj3EES4_fi
; %bb.0:
	s_load_dwordx16 s[12:27], s[4:5], 0x40
	s_waitcnt lgkmcnt(0)
	v_cmp_lt_i64_e64 s[0:1], s[12:13], 1
	s_and_b64 vcc, exec, s[0:1]
	s_cbranch_vccnz .LBB3_7
; %bb.1:
	s_load_dwordx16 s[36:51], s[4:5], 0x0
	s_load_dwordx4 s[0:3], s[4:5], 0x80
	s_load_dwordx2 s[52:53], s[4:5], 0x90
	s_load_dwordx4 s[56:59], s[4:5], 0x98
	v_lshlrev_b32_e32 v6, 2, v0
	s_waitcnt lgkmcnt(0)
	s_mul_i32 s9, s51, s7
	s_mul_hi_u32 s11, s50, s7
	s_mul_i32 s10, s50, s7
	s_add_i32 s11, s11, s9
	s_mul_i32 s28, s10, s13
	s_mul_hi_u32 s29, s10, s12
	s_mul_i32 s9, s11, s12
	s_add_i32 s28, s29, s28
	s_add_i32 s9, s28, s9
	s_mul_i32 s28, s10, s12
	s_add_u32 s28, s28, s6
	s_addc_u32 s29, s9, 0
	s_lshl_b64 s[28:29], s[28:29], 9
	s_mul_i32 s34, s50, s14
	s_add_u32 s30, s10, s6
	s_mul_i32 s9, s34, s13
	s_mul_hi_u32 s33, s34, s12
	s_addc_u32 s31, s11, 0
	s_add_i32 s9, s33, s9
	s_mul_i32 s15, s50, s15
	s_mul_hi_u32 s33, s50, s14
	s_add_i32 s15, s33, s15
	s_mul_i32 s14, s51, s14
	s_add_i32 s35, s15, s14
	s_mul_i32 s14, s35, s12
	;; [unrolled: 2-line block ×3, first 2 shown]
	s_lshl_b64 s[14:15], s[14:15], 9
	s_add_u32 s9, s48, s14
	s_load_dword s14, s[4:5], 0xa8
	s_addc_u32 s33, s49, s15
	s_mul_hi_u32 s15, s56, s6
	s_add_i32 s15, s6, s15
	s_mul_hi_u32 s54, s59, s7
	s_lshr_b32 s15, s15, s57
	s_mul_i32 s55, s15, s58
	s_add_i32 s54, s7, s54
	s_waitcnt lgkmcnt(0)
	s_lshr_b32 s54, s54, s14
	s_sub_i32 s55, s6, s55
	s_lshl_b64 s[10:11], s[10:11], 16
	s_add_u32 s46, s46, s10
	s_addc_u32 s47, s47, s11
	s_load_dwordx2 s[10:11], s[4:5], 0xb0
	s_load_dword s56, s[4:5], 0xc4
	s_mov_b32 s15, 0
	s_lshl_b32 s14, s6, 14
	s_lshl_b64 s[4:5], s[14:15], 2
	s_add_u32 s4, s46, s4
	s_addc_u32 s5, s47, s5
	s_waitcnt lgkmcnt(0)
	s_lshr_b32 s14, s56, 16
	s_mul_i32 s8, s8, s14
	v_add_u32_e32 v1, s8, v1
	v_lshlrev_b32_e32 v3, 7, v1
	v_ashrrev_i32_e32 v4, 31, v3
	v_lshlrev_b64 v[4:5], 2, v[3:4]
	v_mov_b32_e32 v2, s5
	v_add_co_u32_e32 v4, vcc, s4, v4
	v_addc_co_u32_e32 v2, vcc, v2, v5, vcc
	v_add_co_u32_e32 v4, vcc, v4, v6
	v_addc_co_u32_e32 v5, vcc, 0, v2, vcc
	global_load_dword v8, v[4:5], off
	global_load_dword v9, v[4:5], off offset:256
	v_mbcnt_lo_u32_b32 v2, -1, 0
	v_mbcnt_hi_u32_b32 v2, -1, v2
	v_and_b32_e32 v4, 64, v2
	v_add_u32_e32 v4, 64, v4
	v_xor_b32_e32 v5, 32, v2
	v_cmp_lt_i32_e32 vcc, v5, v4
	v_cndmask_b32_e32 v5, v2, v5, vcc
	v_lshlrev_b32_e32 v10, 2, v5
	v_xor_b32_e32 v5, 16, v2
	v_cmp_lt_i32_e32 vcc, v5, v4
	v_cndmask_b32_e32 v5, v2, v5, vcc
	v_lshlrev_b32_e32 v11, 2, v5
	;; [unrolled: 4-line block ×3, first 2 shown]
	v_xor_b32_e32 v5, 4, v2
	v_cmp_lt_i32_e32 vcc, v5, v4
	v_cndmask_b32_e32 v5, v2, v5, vcc
	s_mul_i32 s4, s27, s7
	s_mul_hi_u32 s5, s26, s7
	v_lshlrev_b32_e32 v13, 2, v5
	v_xor_b32_e32 v5, 2, v2
	s_add_i32 s5, s5, s4
	s_mul_i32 s4, s26, s7
	v_cmp_lt_i32_e32 vcc, v5, v4
	s_lshl_b64 s[4:5], s[4:5], 2
	v_cndmask_b32_e32 v5, v2, v5, vcc
	s_add_u32 s8, s40, s4
	v_lshlrev_b32_e32 v14, 2, v5
	v_xor_b32_e32 v5, 1, v2
	s_addc_u32 s14, s41, s5
	s_mul_i32 s4, s23, s6
	s_mul_hi_u32 s5, s22, s6
	v_cmp_lt_i32_e32 vcc, v5, v4
	s_add_i32 s5, s5, s4
	s_mul_i32 s4, s22, s6
	v_cndmask_b32_e32 v2, v2, v5, vcc
	s_lshl_b64 s[4:5], s[4:5], 2
	v_lshlrev_b32_e32 v15, 2, v2
	v_ashrrev_i32_e32 v2, 31, v1
	s_add_u32 s4, s8, s4
	v_lshlrev_b64 v[4:5], 2, v[1:2]
	s_addc_u32 s5, s14, s5
	s_mul_i32 s8, s53, s7
	s_mul_hi_u32 s14, s52, s7
	s_mul_i32 s23, s52, s7
	s_mul_i32 s1, s1, s6
	s_mul_hi_u32 s7, s0, s6
	v_add_u32_e32 v16, v3, v0
	s_add_i32 s22, s14, s8
	s_add_i32 s27, s7, s1
	s_mul_i32 s40, s0, s6
	v_mov_b32_e32 v2, s5
	v_add_co_u32_e32 v1, vcc, s4, v4
	s_lshl_b64 s[4:5], s[34:35], 14
	s_lshl_b64 s[6:7], s[30:31], 16
	v_ashrrev_i32_e32 v17, 31, v16
	s_add_u32 s6, s9, s6
	v_lshlrev_b64 v[16:17], 2, v[16:17]
	v_addc_co_u32_e32 v2, vcc, v2, v5, vcc
	s_addc_u32 s7, s33, s7
	s_add_i32 s26, s12, -1
	v_cmp_eq_u32_e64 s[0:1], 0, v0
	v_mov_b32_e32 v3, s7
	v_add_co_u32_e32 v0, vcc, s6, v16
	s_add_u32 s6, s48, s28
	s_mul_i32 s8, s21, s54
	s_mul_hi_u32 s9, s20, s54
	s_mul_i32 s14, s17, s55
	s_mul_hi_u32 s15, s16, s55
	v_addc_co_u32_e32 v16, vcc, v3, v17, vcc
	s_addc_u32 s7, s49, s29
	s_add_i32 s9, s9, s8
	s_mul_i32 s8, s20, s54
	s_add_i32 s15, s15, s14
	s_mul_i32 s14, s16, s55
	v_mov_b32_e32 v17, s7
	v_add_co_u32_e32 v3, vcc, s6, v4
	s_lshl_b64 s[6:7], s[50:51], 9
	s_lshl_b64 s[8:9], s[8:9], 2
	;; [unrolled: 1-line block ×3, first 2 shown]
	s_add_u32 s8, s8, s14
	v_addc_co_u32_e32 v4, vcc, v17, v5, vcc
	s_addc_u32 s9, s9, s15
	v_mov_b32_e32 v5, s9
	v_add_co_u32_e32 v17, vcc, s8, v6
	s_lshl_b64 s[8:9], s[18:19], 2
	s_add_u32 s18, s23, s40
	s_addc_u32 s19, s22, s27
	v_addc_co_u32_e32 v5, vcc, 0, v5, vcc
	s_movk_i32 s16, 0x100
	s_lshl_b64 s[14:15], s[18:19], 9
	v_add_co_u32_e32 v17, vcc, s16, v17
	s_add_u32 s14, s42, s14
	v_addc_co_u32_e32 v18, vcc, 0, v5, vcc
	s_addc_u32 s15, s43, s15
	v_mov_b32_e32 v5, s15
	v_add_co_u32_e32 v6, vcc, s14, v6
	v_addc_co_u32_e32 v19, vcc, 0, v5, vcc
	v_add_co_u32_e32 v5, vcc, s16, v6
	s_lshl_b64 s[14:15], s[2:3], 9
	s_lshl_b64 s[16:17], s[24:25], 2
	;; [unrolled: 1-line block ×3, first 2 shown]
	s_add_u32 s18, s44, s18
	v_mov_b32_e32 v7, 0
	v_addc_co_u32_e32 v6, vcc, 0, v19, vcc
	s_addc_u32 s19, s45, s19
	s_lshl_b64 s[20:21], s[2:3], 2
	s_mov_b64 s[22:23], 0
	s_mov_b32 s24, 0x3fb8aa3b
	s_mov_b32 s25, 0xc2ce8ed0
	;; [unrolled: 1-line block ×3, first 2 shown]
	v_mov_b32_e32 v19, 0x7f800000
	s_branch .LBB3_3
.LBB3_2:                                ;   in Loop: Header=BB3_3 Depth=1
	v_mov_b32_e32 v20, s7
	v_add_co_u32_e32 v3, vcc, s6, v3
	v_addc_co_u32_e32 v4, vcc, v4, v20, vcc
	v_mov_b32_e32 v20, s9
	v_add_co_u32_e32 v17, vcc, s8, v17
	v_addc_co_u32_e32 v18, vcc, v18, v20, vcc
	;; [unrolled: 3-line block ×3, first 2 shown]
	s_add_u32 s22, s22, 1
	v_mov_b32_e32 v20, s17
	v_add_co_u32_e32 v1, vcc, s16, v1
	s_addc_u32 s23, s23, 0
	v_addc_co_u32_e32 v2, vcc, v2, v20, vcc
	s_waitcnt lgkmcnt(0)
	v_mov_b32_e32 v20, s22
	v_mov_b32_e32 v21, s23
	s_add_i32 s26, s26, -1
	v_cmp_le_i64_e32 vcc, s[12:13], v[20:21]
	s_add_u32 s18, s18, s20
	s_addc_u32 s19, s19, s21
	s_cbranch_vccnz .LBB3_7
.LBB3_3:                                ; =>This Inner Loop Header: Depth=1
	global_load_dword v22, v[5:6], off offset:-256
	global_load_dword v23, v[5:6], off
	v_mov_b32_e32 v21, s39
	v_add_co_u32_e32 v20, vcc, s38, v17
	v_addc_co_u32_e32 v21, vcc, v21, v18, vcc
	global_load_dword v25, v[20:21], off offset:-256
	global_load_dword v26, v[20:21], off
	v_mov_b32_e32 v24, s37
	v_add_co_u32_e32 v20, vcc, s36, v17
	v_addc_co_u32_e32 v21, vcc, v24, v18, vcc
	global_load_dword v24, v[20:21], off offset:-256
	global_load_dword v27, v[20:21], off
	s_waitcnt vmcnt(5)
	v_mul_f32_e32 v20, 0x3fb8aa3b, v22
	v_fma_f32 v21, v22, s24, -v20
	v_rndne_f32_e32 v28, v20
	v_fmac_f32_e32 v21, 0x32a5705f, v22
	v_sub_f32_e32 v20, v20, v28
	v_add_f32_e32 v20, v20, v21
	s_waitcnt vmcnt(4)
	v_mul_f32_e32 v21, 0x3fb8aa3b, v23
	v_cvt_i32_f32_e32 v28, v28
	v_exp_f32_e32 v20, v20
	v_fma_f32 v29, v23, s24, -v21
	v_rndne_f32_e32 v30, v21
	v_fmac_f32_e32 v29, 0x32a5705f, v23
	v_sub_f32_e32 v21, v21, v30
	v_add_f32_e32 v21, v21, v29
	v_ldexp_f32 v20, v20, v28
	v_cvt_i32_f32_e32 v28, v30
	v_exp_f32_e32 v21, v21
	v_cmp_ngt_f32_e32 vcc, s25, v22
	v_cndmask_b32_e32 v20, 0, v20, vcc
	v_cmp_nlt_f32_e32 vcc, s27, v22
	v_ldexp_f32 v21, v21, v28
	global_load_dword v22, v[1:2], off
	v_cmp_ngt_f32_e64 s[2:3], s25, v23
	v_cndmask_b32_e64 v21, 0, v21, s[2:3]
	v_cmp_nlt_f32_e64 s[2:3], s27, v23
	global_load_dword v23, v7, s[18:19]
	v_cndmask_b32_e32 v20, v19, v20, vcc
	v_cndmask_b32_e64 v21, v19, v21, s[2:3]
	v_mul_f32_e32 v8, v8, v20
	v_mul_f32_e32 v9, v9, v21
	s_waitcnt vmcnt(5)
	v_fma_f32 v20, v25, v8, 0
	s_waitcnt vmcnt(4)
	v_fmac_f32_e32 v20, v26, v9
	ds_bpermute_b32 v21, v10, v20
	s_waitcnt lgkmcnt(0)
	v_add_f32_e32 v20, v20, v21
	ds_bpermute_b32 v21, v11, v20
	s_waitcnt lgkmcnt(0)
	v_add_f32_e32 v20, v20, v21
	;; [unrolled: 3-line block ×6, first 2 shown]
	s_waitcnt vmcnt(1)
	v_sub_f32_e32 v20, v22, v20
	s_waitcnt vmcnt(0)
	v_mul_f32_e32 v20, v23, v20
	v_fmac_f32_e32 v8, v20, v25
	v_fmac_f32_e32 v9, v20, v26
	v_fma_f32 v20, v24, v8, 0
	v_fmac_f32_e32 v20, v27, v9
	ds_bpermute_b32 v21, v10, v20
	s_waitcnt lgkmcnt(0)
	v_add_f32_e32 v20, v20, v21
	ds_bpermute_b32 v21, v11, v20
	s_waitcnt lgkmcnt(0)
	v_add_f32_e32 v20, v20, v21
	;; [unrolled: 3-line block ×5, first 2 shown]
	ds_bpermute_b32 v21, v15, v20
	s_and_saveexec_b64 s[2:3], s[0:1]
	s_cbranch_execz .LBB3_5
; %bb.4:                                ;   in Loop: Header=BB3_3 Depth=1
	s_waitcnt lgkmcnt(0)
	v_add_f32_e32 v20, v20, v21
	v_mul_f32_e32 v20, s10, v20
	global_store_dword v[3:4], v20, off
.LBB3_5:                                ;   in Loop: Header=BB3_3 Depth=1
	s_or_b64 exec, exec, s[2:3]
	s_cmp_lt_i32 s26, 0
	s_cselect_b64 s[2:3], -1, 0
	s_cmp_ge_i32 s26, s11
	s_cselect_b64 s[28:29], -1, 0
	s_or_b64 s[2:3], s[2:3], s[28:29]
	s_and_b64 vcc, exec, s[2:3]
	s_cbranch_vccnz .LBB3_2
; %bb.6:                                ;   in Loop: Header=BB3_3 Depth=1
	s_mul_i32 s2, s5, s26
	s_mul_hi_u32 s3, s4, s26
	s_add_i32 s3, s3, s2
	s_mul_i32 s2, s4, s26
	s_lshl_b64 s[2:3], s[2:3], 2
	s_waitcnt lgkmcnt(0)
	v_mov_b32_e32 v21, s3
	v_add_co_u32_e32 v20, vcc, s2, v0
	v_addc_co_u32_e32 v21, vcc, v16, v21, vcc
	global_store_dword v[20:21], v8, off
	global_store_dword v[20:21], v9, off offset:256
	s_branch .LBB3_2
.LBB3_7:
	s_endpgm
	.section	.rodata,"a",@progbits
	.p2align	6, 0x0
	.amdhsa_kernel _Z20gated_delta_net_cudaILi128ELb1ELb1EEvPKfS1_S1_S1_S1_S1_Pfllllllllllll15HIP_vector_typeIjLj3EES4_fi
		.amdhsa_group_segment_fixed_size 0
		.amdhsa_private_segment_fixed_size 0
		.amdhsa_kernarg_size 440
		.amdhsa_user_sgpr_count 6
		.amdhsa_user_sgpr_private_segment_buffer 1
		.amdhsa_user_sgpr_dispatch_ptr 0
		.amdhsa_user_sgpr_queue_ptr 0
		.amdhsa_user_sgpr_kernarg_segment_ptr 1
		.amdhsa_user_sgpr_dispatch_id 0
		.amdhsa_user_sgpr_flat_scratch_init 0
		.amdhsa_user_sgpr_private_segment_size 0
		.amdhsa_uses_dynamic_stack 0
		.amdhsa_system_sgpr_private_segment_wavefront_offset 0
		.amdhsa_system_sgpr_workgroup_id_x 1
		.amdhsa_system_sgpr_workgroup_id_y 1
		.amdhsa_system_sgpr_workgroup_id_z 1
		.amdhsa_system_sgpr_workgroup_info 0
		.amdhsa_system_vgpr_workitem_id 1
		.amdhsa_next_free_vgpr 31
		.amdhsa_next_free_sgpr 60
		.amdhsa_reserve_vcc 1
		.amdhsa_reserve_flat_scratch 0
		.amdhsa_float_round_mode_32 0
		.amdhsa_float_round_mode_16_64 0
		.amdhsa_float_denorm_mode_32 3
		.amdhsa_float_denorm_mode_16_64 3
		.amdhsa_dx10_clamp 1
		.amdhsa_ieee_mode 1
		.amdhsa_fp16_overflow 0
		.amdhsa_exception_fp_ieee_invalid_op 0
		.amdhsa_exception_fp_denorm_src 0
		.amdhsa_exception_fp_ieee_div_zero 0
		.amdhsa_exception_fp_ieee_overflow 0
		.amdhsa_exception_fp_ieee_underflow 0
		.amdhsa_exception_fp_ieee_inexact 0
		.amdhsa_exception_int_div_zero 0
	.end_amdhsa_kernel
	.section	.text._Z20gated_delta_net_cudaILi128ELb1ELb1EEvPKfS1_S1_S1_S1_S1_Pfllllllllllll15HIP_vector_typeIjLj3EES4_fi,"axG",@progbits,_Z20gated_delta_net_cudaILi128ELb1ELb1EEvPKfS1_S1_S1_S1_S1_Pfllllllllllll15HIP_vector_typeIjLj3EES4_fi,comdat
.Lfunc_end3:
	.size	_Z20gated_delta_net_cudaILi128ELb1ELb1EEvPKfS1_S1_S1_S1_S1_Pfllllllllllll15HIP_vector_typeIjLj3EES4_fi, .Lfunc_end3-_Z20gated_delta_net_cudaILi128ELb1ELb1EEvPKfS1_S1_S1_S1_S1_Pfllllllllllll15HIP_vector_typeIjLj3EES4_fi
                                        ; -- End function
	.set _Z20gated_delta_net_cudaILi128ELb1ELb1EEvPKfS1_S1_S1_S1_S1_Pfllllllllllll15HIP_vector_typeIjLj3EES4_fi.num_vgpr, 31
	.set _Z20gated_delta_net_cudaILi128ELb1ELb1EEvPKfS1_S1_S1_S1_S1_Pfllllllllllll15HIP_vector_typeIjLj3EES4_fi.num_agpr, 0
	.set _Z20gated_delta_net_cudaILi128ELb1ELb1EEvPKfS1_S1_S1_S1_S1_Pfllllllllllll15HIP_vector_typeIjLj3EES4_fi.numbered_sgpr, 60
	.set _Z20gated_delta_net_cudaILi128ELb1ELb1EEvPKfS1_S1_S1_S1_S1_Pfllllllllllll15HIP_vector_typeIjLj3EES4_fi.num_named_barrier, 0
	.set _Z20gated_delta_net_cudaILi128ELb1ELb1EEvPKfS1_S1_S1_S1_S1_Pfllllllllllll15HIP_vector_typeIjLj3EES4_fi.private_seg_size, 0
	.set _Z20gated_delta_net_cudaILi128ELb1ELb1EEvPKfS1_S1_S1_S1_S1_Pfllllllllllll15HIP_vector_typeIjLj3EES4_fi.uses_vcc, 1
	.set _Z20gated_delta_net_cudaILi128ELb1ELb1EEvPKfS1_S1_S1_S1_S1_Pfllllllllllll15HIP_vector_typeIjLj3EES4_fi.uses_flat_scratch, 0
	.set _Z20gated_delta_net_cudaILi128ELb1ELb1EEvPKfS1_S1_S1_S1_S1_Pfllllllllllll15HIP_vector_typeIjLj3EES4_fi.has_dyn_sized_stack, 0
	.set _Z20gated_delta_net_cudaILi128ELb1ELb1EEvPKfS1_S1_S1_S1_S1_Pfllllllllllll15HIP_vector_typeIjLj3EES4_fi.has_recursion, 0
	.set _Z20gated_delta_net_cudaILi128ELb1ELb1EEvPKfS1_S1_S1_S1_S1_Pfllllllllllll15HIP_vector_typeIjLj3EES4_fi.has_indirect_call, 0
	.section	.AMDGPU.csdata,"",@progbits
; Kernel info:
; codeLenInByte = 1548
; TotalNumSgprs: 64
; NumVgprs: 31
; ScratchSize: 0
; MemoryBound: 0
; FloatMode: 240
; IeeeMode: 1
; LDSByteSize: 0 bytes/workgroup (compile time only)
; SGPRBlocks: 7
; VGPRBlocks: 7
; NumSGPRsForWavesPerEU: 64
; NumVGPRsForWavesPerEU: 31
; Occupancy: 8
; WaveLimiterHint : 1
; COMPUTE_PGM_RSRC2:SCRATCH_EN: 0
; COMPUTE_PGM_RSRC2:USER_SGPR: 6
; COMPUTE_PGM_RSRC2:TRAP_HANDLER: 0
; COMPUTE_PGM_RSRC2:TGID_X_EN: 1
; COMPUTE_PGM_RSRC2:TGID_Y_EN: 1
; COMPUTE_PGM_RSRC2:TGID_Z_EN: 1
; COMPUTE_PGM_RSRC2:TIDIG_COMP_CNT: 1
	.section	.text._Z20gated_delta_net_cudaILi16ELb1ELb0EEvPKfS1_S1_S1_S1_S1_Pfllllllllllll15HIP_vector_typeIjLj3EES4_fi,"axG",@progbits,_Z20gated_delta_net_cudaILi16ELb1ELb0EEvPKfS1_S1_S1_S1_S1_Pfllllllllllll15HIP_vector_typeIjLj3EES4_fi,comdat
	.protected	_Z20gated_delta_net_cudaILi16ELb1ELb0EEvPKfS1_S1_S1_S1_S1_Pfllllllllllll15HIP_vector_typeIjLj3EES4_fi ; -- Begin function _Z20gated_delta_net_cudaILi16ELb1ELb0EEvPKfS1_S1_S1_S1_S1_Pfllllllllllll15HIP_vector_typeIjLj3EES4_fi
	.globl	_Z20gated_delta_net_cudaILi16ELb1ELb0EEvPKfS1_S1_S1_S1_S1_Pfllllllllllll15HIP_vector_typeIjLj3EES4_fi
	.p2align	8
	.type	_Z20gated_delta_net_cudaILi16ELb1ELb0EEvPKfS1_S1_S1_S1_S1_Pfllllllllllll15HIP_vector_typeIjLj3EES4_fi,@function
_Z20gated_delta_net_cudaILi16ELb1ELb0EEvPKfS1_S1_S1_S1_S1_Pfllllllllllll15HIP_vector_typeIjLj3EES4_fi: ; @_Z20gated_delta_net_cudaILi16ELb1ELb0EEvPKfS1_S1_S1_S1_S1_Pfllllllllllll15HIP_vector_typeIjLj3EES4_fi
; %bb.0:
	s_load_dword s0, s[4:5], 0xc4
	s_load_dwordx16 s[12:27], s[4:5], 0x0
	s_mov_b32 s1, 0
	s_load_dwordx16 s[36:51], s[4:5], 0x40
	v_mov_b32_e32 v9, 0
	s_waitcnt lgkmcnt(0)
	s_lshr_b32 s0, s0, 16
	s_mul_i32 s8, s8, s0
	s_mul_i32 s0, s27, s7
	s_mul_hi_u32 s2, s26, s7
	v_add_u32_e32 v3, s8, v1
	s_add_i32 s9, s2, s0
	s_mul_i32 s8, s26, s7
	s_lshl_b32 s0, s6, 8
	s_lshl_b64 s[2:3], s[8:9], 10
	v_lshlrev_b32_e32 v1, 4, v3
	s_add_u32 s2, s22, s2
	v_ashrrev_i32_e32 v2, 31, v1
	s_addc_u32 s3, s23, s3
	s_lshl_b64 s[0:1], s[0:1], 2
	s_add_u32 s0, s2, s0
	v_lshlrev_b64 v[4:5], 2, v[1:2]
	s_addc_u32 s1, s3, s1
	v_mov_b32_e32 v2, s1
	v_add_co_u32_e32 v4, vcc, s0, v4
	v_addc_co_u32_e32 v2, vcc, v2, v5, vcc
	v_lshlrev_b32_e32 v5, 2, v0
	v_add_co_u32_e32 v6, vcc, v4, v5
	v_addc_co_u32_e32 v7, vcc, 0, v2, vcc
	global_load_dword v8, v[6:7], off
	v_cmp_lt_i64_e64 s[0:1], s[36:37], 1
	s_and_b64 vcc, exec, s[0:1]
	s_cbranch_vccnz .LBB4_5
; %bb.1:
	s_load_dwordx4 s[0:3], s[4:5], 0x80
	s_load_dwordx2 s[10:11], s[4:5], 0x90
	s_load_dwordx4 s[52:55], s[4:5], 0x98
	s_load_dword s28, s[4:5], 0xa8
	s_load_dword s30, s[4:5], 0xb0
	s_mul_i32 s4, s8, s37
	s_mul_hi_u32 s5, s8, s36
	s_add_i32 s4, s5, s4
	s_mul_i32 s5, s9, s36
	s_add_i32 s5, s4, s5
	s_mul_i32 s4, s8, s36
	s_add_u32 s4, s4, s6
	s_addc_u32 s5, s5, 0
	v_mbcnt_lo_u32_b32 v2, -1, 0
	s_lshl_b64 s[22:23], s[4:5], 6
	s_waitcnt lgkmcnt(0)
	s_mul_hi_u32 s4, s55, s7
	v_mbcnt_hi_u32_b32 v2, -1, v2
	s_add_i32 s4, s7, s4
	v_and_b32_e32 v4, 0x70, v2
	s_lshr_b32 s28, s4, s28
	s_mul_hi_u32 s4, s52, s6
	v_add_u32_e32 v4, 16, v4
	v_xor_b32_e32 v6, 8, v2
	s_add_i32 s4, s6, s4
	v_cmp_lt_i32_e32 vcc, v6, v4
	s_lshr_b32 s4, s4, s53
	v_cndmask_b32_e32 v6, v2, v6, vcc
	s_mul_i32 s4, s4, s54
	v_lshlrev_b32_e32 v10, 2, v6
	v_xor_b32_e32 v6, 4, v2
	s_sub_i32 s29, s6, s4
	s_mul_i32 s4, s51, s7
	s_mul_hi_u32 s5, s50, s7
	v_cmp_lt_i32_e32 vcc, v6, v4
	s_add_i32 s5, s5, s4
	s_mul_i32 s4, s50, s7
	v_cndmask_b32_e32 v6, v2, v6, vcc
	s_lshl_b64 s[4:5], s[4:5], 2
	v_lshlrev_b32_e32 v11, 2, v6
	v_xor_b32_e32 v6, 2, v2
	s_add_u32 s16, s16, s4
	v_cmp_lt_i32_e32 vcc, v6, v4
	s_addc_u32 s17, s17, s5
	s_mul_i32 s4, s47, s6
	s_mul_hi_u32 s5, s46, s6
	v_cndmask_b32_e32 v6, v2, v6, vcc
	s_add_i32 s5, s5, s4
	s_mul_i32 s4, s46, s6
	v_lshlrev_b32_e32 v12, 2, v6
	v_xor_b32_e32 v6, 1, v2
	s_lshl_b64 s[4:5], s[4:5], 2
	v_cmp_lt_i32_e32 vcc, v6, v4
	v_ashrrev_i32_e32 v4, 31, v3
	s_add_u32 s4, s16, s4
	v_cndmask_b32_e32 v2, v2, v6, vcc
	v_lshlrev_b64 v[6:7], 2, v[3:4]
	s_addc_u32 s5, s17, s5
	s_mul_i32 s11, s11, s7
	s_mul_hi_u32 s16, s10, s7
	s_mul_i32 s7, s10, s7
	s_mul_i32 s1, s1, s6
	s_mul_hi_u32 s10, s0, s6
	s_add_i32 s16, s16, s11
	s_add_i32 s17, s10, s1
	v_lshlrev_b32_e32 v13, 2, v2
	v_mov_b32_e32 v3, s5
	v_add_co_u32_e32 v2, vcc, s4, v6
	s_mul_i32 s4, s45, s28
	s_mul_hi_u32 s5, s44, s28
	s_mul_i32 s10, s41, s29
	s_mul_hi_u32 s11, s40, s29
	s_add_i32 s5, s5, s4
	s_mul_i32 s4, s44, s28
	s_add_i32 s11, s11, s10
	s_mul_i32 s10, s40, s29
	s_lshl_b64 s[4:5], s[4:5], 2
	s_lshl_b64 s[10:11], s[10:11], 2
	s_add_u32 s4, s4, s10
	v_addc_co_u32_e32 v3, vcc, v3, v7, vcc
	s_addc_u32 s5, s5, s11
	s_mul_i32 s31, s0, s6
	v_mov_b32_e32 v4, s5
	v_add_co_u32_e32 v14, vcc, s4, v5
	s_lshl_b64 s[4:5], s[42:43], 2
	s_lshl_b64 s[10:11], s[48:49], 2
	s_add_u32 s28, s7, s31
	s_addc_u32 s29, s16, s17
	s_lshl_b64 s[16:17], s[28:29], 2
	s_add_u32 s16, s20, s16
	s_addc_u32 s17, s21, s17
	s_lshl_b64 s[20:21], s[2:3], 2
	s_lshl_b64 s[28:29], s[28:29], 6
	s_add_u32 s7, s18, s28
	s_addc_u32 s18, s19, s29
	v_addc_co_u32_e32 v15, vcc, 0, v4, vcc
	v_mov_b32_e32 v16, s18
	s_lshl_b64 s[18:19], s[2:3], 6
	v_add_co_u32_e32 v4, vcc, s7, v5
	s_add_u32 s2, s24, s22
	v_addc_co_u32_e32 v5, vcc, 0, v16, vcc
	s_addc_u32 s3, s25, s23
	v_mov_b32_e32 v16, s3
	v_add_co_u32_e32 v6, vcc, s2, v6
	v_cmp_eq_u32_e64 s[0:1], 0, v0
	v_addc_co_u32_e32 v7, vcc, v16, v7, vcc
	s_lshl_b64 s[22:23], s[26:27], 6
	s_mov_b64 s[28:29], 0
	s_mov_b32 s7, 0x3fb8aa3b
	s_mov_b32 s31, 0xc2ce8ed0
	;; [unrolled: 1-line block ×3, first 2 shown]
	v_mov_b32_e32 v16, 0x7f800000
	s_branch .LBB4_3
.LBB4_2:                                ;   in Loop: Header=BB4_3 Depth=1
	s_or_b64 exec, exec, s[2:3]
	v_mov_b32_e32 v17, s5
	v_add_co_u32_e32 v14, vcc, s4, v14
	v_addc_co_u32_e32 v15, vcc, v15, v17, vcc
	v_mov_b32_e32 v17, s11
	v_add_co_u32_e32 v2, vcc, s10, v2
	v_addc_co_u32_e32 v3, vcc, v3, v17, vcc
	s_add_u32 s28, s28, 1
	v_mov_b32_e32 v17, s19
	v_add_co_u32_e32 v4, vcc, s18, v4
	s_addc_u32 s29, s29, 0
	v_addc_co_u32_e32 v5, vcc, v5, v17, vcc
	s_waitcnt lgkmcnt(0)
	v_mov_b32_e32 v17, s28
	v_mov_b32_e32 v18, s29
	v_cmp_le_i64_e32 vcc, s[36:37], v[17:18]
	s_add_u32 s16, s16, s20
	v_mov_b32_e32 v19, s23
	v_add_co_u32_e64 v6, s[2:3], s22, v6
	s_addc_u32 s17, s17, s21
	v_addc_co_u32_e64 v7, s[2:3], v7, v19, s[2:3]
	s_cbranch_vccnz .LBB4_5
.LBB4_3:                                ; =>This Inner Loop Header: Depth=1
	v_mov_b32_e32 v18, s15
	v_add_co_u32_e32 v17, vcc, s14, v14
	v_addc_co_u32_e32 v18, vcc, v18, v15, vcc
	global_load_dword v19, v[17:18], off
	global_load_dword v20, v[4:5], off
	s_waitcnt vmcnt(0)
	v_mul_f32_e32 v17, 0x3fb8aa3b, v20
	v_fma_f32 v18, v20, s7, -v17
	v_cmp_ngt_f32_e32 vcc, s31, v20
	v_cmp_nlt_f32_e64 s[2:3], s33, v20
	v_fmac_f32_e32 v18, 0x32a5705f, v20
	v_rndne_f32_e32 v20, v17
	v_sub_f32_e32 v17, v17, v20
	v_add_f32_e32 v17, v17, v18
	v_cvt_i32_f32_e32 v18, v20
	v_exp_f32_e32 v17, v17
	v_ldexp_f32 v17, v17, v18
	v_cndmask_b32_e32 v17, 0, v17, vcc
	v_cndmask_b32_e64 v17, v16, v17, s[2:3]
	v_mul_f32_e32 v8, v8, v17
	v_fma_f32 v17, v19, v8, 0
	ds_bpermute_b32 v18, v10, v17
	s_waitcnt lgkmcnt(0)
	v_add_f32_e32 v17, v17, v18
	ds_bpermute_b32 v18, v11, v17
	s_waitcnt lgkmcnt(0)
	v_add_f32_e32 v17, v17, v18
	;; [unrolled: 3-line block ×4, first 2 shown]
	global_load_dword v18, v[2:3], off
	s_waitcnt vmcnt(0)
	v_sub_f32_e32 v17, v18, v17
	global_load_dword v18, v9, s[16:17]
	s_waitcnt vmcnt(0)
	v_mul_f32_e32 v17, v18, v17
	v_fmac_f32_e32 v8, v19, v17
	v_mov_b32_e32 v18, s13
	v_add_co_u32_e32 v17, vcc, s12, v14
	v_addc_co_u32_e32 v18, vcc, v18, v15, vcc
	global_load_dword v17, v[17:18], off
	s_waitcnt vmcnt(0)
	v_fma_f32 v17, v17, v8, 0
	ds_bpermute_b32 v18, v10, v17
	s_waitcnt lgkmcnt(0)
	v_add_f32_e32 v17, v17, v18
	ds_bpermute_b32 v18, v11, v17
	s_waitcnt lgkmcnt(0)
	v_add_f32_e32 v17, v17, v18
	;; [unrolled: 3-line block ×3, first 2 shown]
	ds_bpermute_b32 v18, v13, v17
	s_and_saveexec_b64 s[2:3], s[0:1]
	s_cbranch_execz .LBB4_2
; %bb.4:                                ;   in Loop: Header=BB4_3 Depth=1
	s_waitcnt lgkmcnt(0)
	v_add_f32_e32 v17, v17, v18
	v_mul_f32_e32 v17, s30, v17
	global_store_dword v[6:7], v17, off
	s_branch .LBB4_2
.LBB4_5:
	s_mul_i32 s0, s26, s37
	s_mul_hi_u32 s1, s26, s36
	s_add_i32 s0, s1, s0
	s_mul_i32 s1, s27, s36
	s_mul_i32 s2, s26, s36
	s_add_i32 s0, s0, s1
	s_mul_i32 s1, s2, s39
	s_mul_hi_u32 s3, s2, s38
	s_add_i32 s1, s3, s1
	s_mul_i32 s0, s0, s38
	s_add_i32 s1, s1, s0
	s_mul_i32 s0, s2, s38
	s_lshl_b64 s[0:1], s[0:1], 6
	s_add_u32 s2, s24, s0
	s_addc_u32 s3, s25, s1
	s_add_u32 s0, s8, s6
	s_addc_u32 s1, s9, 0
	v_add_u32_e32 v0, v1, v0
	s_lshl_b64 s[0:1], s[0:1], 10
	v_ashrrev_i32_e32 v1, 31, v0
	s_add_u32 s0, s2, s0
	v_lshlrev_b64 v[0:1], 2, v[0:1]
	s_addc_u32 s1, s3, s1
	v_mov_b32_e32 v2, s1
	v_add_co_u32_e32 v0, vcc, s0, v0
	v_addc_co_u32_e32 v1, vcc, v2, v1, vcc
	s_waitcnt vmcnt(0)
	global_store_dword v[0:1], v8, off
	s_endpgm
	.section	.rodata,"a",@progbits
	.p2align	6, 0x0
	.amdhsa_kernel _Z20gated_delta_net_cudaILi16ELb1ELb0EEvPKfS1_S1_S1_S1_S1_Pfllllllllllll15HIP_vector_typeIjLj3EES4_fi
		.amdhsa_group_segment_fixed_size 0
		.amdhsa_private_segment_fixed_size 0
		.amdhsa_kernarg_size 440
		.amdhsa_user_sgpr_count 6
		.amdhsa_user_sgpr_private_segment_buffer 1
		.amdhsa_user_sgpr_dispatch_ptr 0
		.amdhsa_user_sgpr_queue_ptr 0
		.amdhsa_user_sgpr_kernarg_segment_ptr 1
		.amdhsa_user_sgpr_dispatch_id 0
		.amdhsa_user_sgpr_flat_scratch_init 0
		.amdhsa_user_sgpr_private_segment_size 0
		.amdhsa_uses_dynamic_stack 0
		.amdhsa_system_sgpr_private_segment_wavefront_offset 0
		.amdhsa_system_sgpr_workgroup_id_x 1
		.amdhsa_system_sgpr_workgroup_id_y 1
		.amdhsa_system_sgpr_workgroup_id_z 1
		.amdhsa_system_sgpr_workgroup_info 0
		.amdhsa_system_vgpr_workitem_id 1
		.amdhsa_next_free_vgpr 21
		.amdhsa_next_free_sgpr 56
		.amdhsa_reserve_vcc 1
		.amdhsa_reserve_flat_scratch 0
		.amdhsa_float_round_mode_32 0
		.amdhsa_float_round_mode_16_64 0
		.amdhsa_float_denorm_mode_32 3
		.amdhsa_float_denorm_mode_16_64 3
		.amdhsa_dx10_clamp 1
		.amdhsa_ieee_mode 1
		.amdhsa_fp16_overflow 0
		.amdhsa_exception_fp_ieee_invalid_op 0
		.amdhsa_exception_fp_denorm_src 0
		.amdhsa_exception_fp_ieee_div_zero 0
		.amdhsa_exception_fp_ieee_overflow 0
		.amdhsa_exception_fp_ieee_underflow 0
		.amdhsa_exception_fp_ieee_inexact 0
		.amdhsa_exception_int_div_zero 0
	.end_amdhsa_kernel
	.section	.text._Z20gated_delta_net_cudaILi16ELb1ELb0EEvPKfS1_S1_S1_S1_S1_Pfllllllllllll15HIP_vector_typeIjLj3EES4_fi,"axG",@progbits,_Z20gated_delta_net_cudaILi16ELb1ELb0EEvPKfS1_S1_S1_S1_S1_Pfllllllllllll15HIP_vector_typeIjLj3EES4_fi,comdat
.Lfunc_end4:
	.size	_Z20gated_delta_net_cudaILi16ELb1ELb0EEvPKfS1_S1_S1_S1_S1_Pfllllllllllll15HIP_vector_typeIjLj3EES4_fi, .Lfunc_end4-_Z20gated_delta_net_cudaILi16ELb1ELb0EEvPKfS1_S1_S1_S1_S1_Pfllllllllllll15HIP_vector_typeIjLj3EES4_fi
                                        ; -- End function
	.set _Z20gated_delta_net_cudaILi16ELb1ELb0EEvPKfS1_S1_S1_S1_S1_Pfllllllllllll15HIP_vector_typeIjLj3EES4_fi.num_vgpr, 21
	.set _Z20gated_delta_net_cudaILi16ELb1ELb0EEvPKfS1_S1_S1_S1_S1_Pfllllllllllll15HIP_vector_typeIjLj3EES4_fi.num_agpr, 0
	.set _Z20gated_delta_net_cudaILi16ELb1ELb0EEvPKfS1_S1_S1_S1_S1_Pfllllllllllll15HIP_vector_typeIjLj3EES4_fi.numbered_sgpr, 56
	.set _Z20gated_delta_net_cudaILi16ELb1ELb0EEvPKfS1_S1_S1_S1_S1_Pfllllllllllll15HIP_vector_typeIjLj3EES4_fi.num_named_barrier, 0
	.set _Z20gated_delta_net_cudaILi16ELb1ELb0EEvPKfS1_S1_S1_S1_S1_Pfllllllllllll15HIP_vector_typeIjLj3EES4_fi.private_seg_size, 0
	.set _Z20gated_delta_net_cudaILi16ELb1ELb0EEvPKfS1_S1_S1_S1_S1_Pfllllllllllll15HIP_vector_typeIjLj3EES4_fi.uses_vcc, 1
	.set _Z20gated_delta_net_cudaILi16ELb1ELb0EEvPKfS1_S1_S1_S1_S1_Pfllllllllllll15HIP_vector_typeIjLj3EES4_fi.uses_flat_scratch, 0
	.set _Z20gated_delta_net_cudaILi16ELb1ELb0EEvPKfS1_S1_S1_S1_S1_Pfllllllllllll15HIP_vector_typeIjLj3EES4_fi.has_dyn_sized_stack, 0
	.set _Z20gated_delta_net_cudaILi16ELb1ELb0EEvPKfS1_S1_S1_S1_S1_Pfllllllllllll15HIP_vector_typeIjLj3EES4_fi.has_recursion, 0
	.set _Z20gated_delta_net_cudaILi16ELb1ELb0EEvPKfS1_S1_S1_S1_S1_Pfllllllllllll15HIP_vector_typeIjLj3EES4_fi.has_indirect_call, 0
	.section	.AMDGPU.csdata,"",@progbits
; Kernel info:
; codeLenInByte = 1224
; TotalNumSgprs: 60
; NumVgprs: 21
; ScratchSize: 0
; MemoryBound: 0
; FloatMode: 240
; IeeeMode: 1
; LDSByteSize: 0 bytes/workgroup (compile time only)
; SGPRBlocks: 7
; VGPRBlocks: 5
; NumSGPRsForWavesPerEU: 60
; NumVGPRsForWavesPerEU: 21
; Occupancy: 10
; WaveLimiterHint : 0
; COMPUTE_PGM_RSRC2:SCRATCH_EN: 0
; COMPUTE_PGM_RSRC2:USER_SGPR: 6
; COMPUTE_PGM_RSRC2:TRAP_HANDLER: 0
; COMPUTE_PGM_RSRC2:TGID_X_EN: 1
; COMPUTE_PGM_RSRC2:TGID_Y_EN: 1
; COMPUTE_PGM_RSRC2:TGID_Z_EN: 1
; COMPUTE_PGM_RSRC2:TIDIG_COMP_CNT: 1
	.section	.text._Z20gated_delta_net_cudaILi32ELb1ELb0EEvPKfS1_S1_S1_S1_S1_Pfllllllllllll15HIP_vector_typeIjLj3EES4_fi,"axG",@progbits,_Z20gated_delta_net_cudaILi32ELb1ELb0EEvPKfS1_S1_S1_S1_S1_Pfllllllllllll15HIP_vector_typeIjLj3EES4_fi,comdat
	.protected	_Z20gated_delta_net_cudaILi32ELb1ELb0EEvPKfS1_S1_S1_S1_S1_Pfllllllllllll15HIP_vector_typeIjLj3EES4_fi ; -- Begin function _Z20gated_delta_net_cudaILi32ELb1ELb0EEvPKfS1_S1_S1_S1_S1_Pfllllllllllll15HIP_vector_typeIjLj3EES4_fi
	.globl	_Z20gated_delta_net_cudaILi32ELb1ELb0EEvPKfS1_S1_S1_S1_S1_Pfllllllllllll15HIP_vector_typeIjLj3EES4_fi
	.p2align	8
	.type	_Z20gated_delta_net_cudaILi32ELb1ELb0EEvPKfS1_S1_S1_S1_S1_Pfllllllllllll15HIP_vector_typeIjLj3EES4_fi,@function
_Z20gated_delta_net_cudaILi32ELb1ELb0EEvPKfS1_S1_S1_S1_S1_Pfllllllllllll15HIP_vector_typeIjLj3EES4_fi: ; @_Z20gated_delta_net_cudaILi32ELb1ELb0EEvPKfS1_S1_S1_S1_S1_Pfllllllllllll15HIP_vector_typeIjLj3EES4_fi
; %bb.0:
	s_load_dword s0, s[4:5], 0xc4
	s_load_dwordx16 s[12:27], s[4:5], 0x0
	s_mov_b32 s1, 0
	s_load_dwordx16 s[36:51], s[4:5], 0x40
	v_mov_b32_e32 v9, 0
	s_waitcnt lgkmcnt(0)
	s_lshr_b32 s0, s0, 16
	s_mul_i32 s8, s8, s0
	s_mul_i32 s0, s27, s7
	s_mul_hi_u32 s2, s26, s7
	v_add_u32_e32 v3, s8, v1
	s_add_i32 s9, s2, s0
	s_mul_i32 s8, s26, s7
	s_lshl_b32 s0, s6, 10
	s_lshl_b64 s[2:3], s[8:9], 12
	v_lshlrev_b32_e32 v1, 5, v3
	s_add_u32 s2, s22, s2
	v_ashrrev_i32_e32 v2, 31, v1
	s_addc_u32 s3, s23, s3
	s_lshl_b64 s[0:1], s[0:1], 2
	s_add_u32 s0, s2, s0
	v_lshlrev_b64 v[4:5], 2, v[1:2]
	s_addc_u32 s1, s3, s1
	v_mov_b32_e32 v2, s1
	v_add_co_u32_e32 v4, vcc, s0, v4
	v_addc_co_u32_e32 v2, vcc, v2, v5, vcc
	v_lshlrev_b32_e32 v5, 2, v0
	v_add_co_u32_e32 v6, vcc, v4, v5
	v_addc_co_u32_e32 v7, vcc, 0, v2, vcc
	global_load_dword v8, v[6:7], off
	v_cmp_lt_i64_e64 s[0:1], s[36:37], 1
	s_and_b64 vcc, exec, s[0:1]
	s_cbranch_vccnz .LBB5_5
; %bb.1:
	s_load_dwordx4 s[0:3], s[4:5], 0x80
	s_load_dwordx2 s[10:11], s[4:5], 0x90
	s_load_dwordx4 s[52:55], s[4:5], 0x98
	s_load_dword s28, s[4:5], 0xa8
	s_load_dword s30, s[4:5], 0xb0
	s_mul_i32 s4, s8, s37
	s_mul_hi_u32 s5, s8, s36
	s_add_i32 s4, s5, s4
	s_mul_i32 s5, s9, s36
	v_mbcnt_lo_u32_b32 v2, -1, 0
	s_add_i32 s5, s4, s5
	s_mul_i32 s4, s8, s36
	v_mbcnt_hi_u32_b32 v2, -1, v2
	s_add_u32 s4, s4, s6
	v_and_b32_e32 v4, 0x60, v2
	s_addc_u32 s5, s5, 0
	v_add_u32_e32 v4, 32, v4
	v_xor_b32_e32 v6, 16, v2
	s_lshl_b64 s[22:23], s[4:5], 7
	s_waitcnt lgkmcnt(0)
	s_mul_hi_u32 s4, s55, s7
	v_cmp_lt_i32_e32 vcc, v6, v4
	s_add_i32 s4, s7, s4
	v_cndmask_b32_e32 v6, v2, v6, vcc
	s_lshr_b32 s28, s4, s28
	s_mul_hi_u32 s4, s52, s6
	v_lshlrev_b32_e32 v10, 2, v6
	v_xor_b32_e32 v6, 8, v2
	s_add_i32 s4, s6, s4
	v_cmp_lt_i32_e32 vcc, v6, v4
	s_lshr_b32 s4, s4, s53
	v_cndmask_b32_e32 v6, v2, v6, vcc
	s_mul_i32 s4, s4, s54
	v_lshlrev_b32_e32 v11, 2, v6
	v_xor_b32_e32 v6, 4, v2
	s_sub_i32 s29, s6, s4
	s_mul_i32 s4, s51, s7
	s_mul_hi_u32 s5, s50, s7
	v_cmp_lt_i32_e32 vcc, v6, v4
	s_add_i32 s5, s5, s4
	s_mul_i32 s4, s50, s7
	v_cndmask_b32_e32 v6, v2, v6, vcc
	s_lshl_b64 s[4:5], s[4:5], 2
	v_lshlrev_b32_e32 v12, 2, v6
	v_xor_b32_e32 v6, 2, v2
	s_add_u32 s16, s16, s4
	v_cmp_lt_i32_e32 vcc, v6, v4
	s_addc_u32 s17, s17, s5
	s_mul_i32 s4, s47, s6
	s_mul_hi_u32 s5, s46, s6
	v_cndmask_b32_e32 v6, v2, v6, vcc
	s_add_i32 s5, s5, s4
	s_mul_i32 s4, s46, s6
	v_lshlrev_b32_e32 v13, 2, v6
	v_xor_b32_e32 v6, 1, v2
	s_lshl_b64 s[4:5], s[4:5], 2
	v_cmp_lt_i32_e32 vcc, v6, v4
	v_ashrrev_i32_e32 v4, 31, v3
	s_add_u32 s4, s16, s4
	v_cndmask_b32_e32 v2, v2, v6, vcc
	v_lshlrev_b64 v[6:7], 2, v[3:4]
	s_addc_u32 s5, s17, s5
	s_mul_i32 s11, s11, s7
	s_mul_hi_u32 s16, s10, s7
	s_mul_i32 s7, s10, s7
	s_mul_i32 s1, s1, s6
	s_mul_hi_u32 s10, s0, s6
	s_add_i32 s16, s16, s11
	s_add_i32 s17, s10, s1
	v_lshlrev_b32_e32 v14, 2, v2
	v_mov_b32_e32 v3, s5
	v_add_co_u32_e32 v2, vcc, s4, v6
	s_mul_i32 s4, s45, s28
	s_mul_hi_u32 s5, s44, s28
	s_mul_i32 s10, s41, s29
	s_mul_hi_u32 s11, s40, s29
	s_add_i32 s5, s5, s4
	s_mul_i32 s4, s44, s28
	s_add_i32 s11, s11, s10
	s_mul_i32 s10, s40, s29
	s_lshl_b64 s[4:5], s[4:5], 2
	s_lshl_b64 s[10:11], s[10:11], 2
	s_add_u32 s4, s4, s10
	v_addc_co_u32_e32 v3, vcc, v3, v7, vcc
	s_addc_u32 s5, s5, s11
	s_mul_i32 s31, s0, s6
	v_mov_b32_e32 v4, s5
	v_add_co_u32_e32 v15, vcc, s4, v5
	s_lshl_b64 s[4:5], s[42:43], 2
	s_lshl_b64 s[10:11], s[48:49], 2
	s_add_u32 s28, s7, s31
	s_addc_u32 s29, s16, s17
	s_lshl_b64 s[16:17], s[28:29], 2
	s_add_u32 s16, s20, s16
	s_addc_u32 s17, s21, s17
	s_lshl_b64 s[20:21], s[2:3], 2
	s_lshl_b64 s[28:29], s[28:29], 7
	s_add_u32 s7, s18, s28
	s_addc_u32 s18, s19, s29
	v_addc_co_u32_e32 v16, vcc, 0, v4, vcc
	v_mov_b32_e32 v17, s18
	s_lshl_b64 s[18:19], s[2:3], 7
	v_add_co_u32_e32 v4, vcc, s7, v5
	s_add_u32 s2, s24, s22
	v_addc_co_u32_e32 v5, vcc, 0, v17, vcc
	s_addc_u32 s3, s25, s23
	v_mov_b32_e32 v17, s3
	v_add_co_u32_e32 v6, vcc, s2, v6
	v_cmp_eq_u32_e64 s[0:1], 0, v0
	v_addc_co_u32_e32 v7, vcc, v17, v7, vcc
	s_lshl_b64 s[22:23], s[26:27], 7
	s_mov_b64 s[28:29], 0
	s_mov_b32 s7, 0x3fb8aa3b
	s_mov_b32 s31, 0xc2ce8ed0
	s_mov_b32 s33, 0x42b17218
	v_mov_b32_e32 v17, 0x7f800000
	s_branch .LBB5_3
.LBB5_2:                                ;   in Loop: Header=BB5_3 Depth=1
	s_or_b64 exec, exec, s[2:3]
	v_mov_b32_e32 v18, s5
	v_add_co_u32_e32 v15, vcc, s4, v15
	v_addc_co_u32_e32 v16, vcc, v16, v18, vcc
	v_mov_b32_e32 v18, s11
	v_add_co_u32_e32 v2, vcc, s10, v2
	v_addc_co_u32_e32 v3, vcc, v3, v18, vcc
	s_add_u32 s28, s28, 1
	v_mov_b32_e32 v18, s19
	v_add_co_u32_e32 v4, vcc, s18, v4
	s_addc_u32 s29, s29, 0
	v_addc_co_u32_e32 v5, vcc, v5, v18, vcc
	s_waitcnt lgkmcnt(0)
	v_mov_b32_e32 v18, s28
	v_mov_b32_e32 v19, s29
	v_cmp_le_i64_e32 vcc, s[36:37], v[18:19]
	s_add_u32 s16, s16, s20
	v_mov_b32_e32 v20, s23
	v_add_co_u32_e64 v6, s[2:3], s22, v6
	s_addc_u32 s17, s17, s21
	v_addc_co_u32_e64 v7, s[2:3], v7, v20, s[2:3]
	s_cbranch_vccnz .LBB5_5
.LBB5_3:                                ; =>This Inner Loop Header: Depth=1
	v_mov_b32_e32 v19, s15
	v_add_co_u32_e32 v18, vcc, s14, v15
	v_addc_co_u32_e32 v19, vcc, v19, v16, vcc
	global_load_dword v20, v[18:19], off
	global_load_dword v21, v[4:5], off
	s_waitcnt vmcnt(0)
	v_mul_f32_e32 v18, 0x3fb8aa3b, v21
	v_fma_f32 v19, v21, s7, -v18
	v_cmp_ngt_f32_e32 vcc, s31, v21
	v_cmp_nlt_f32_e64 s[2:3], s33, v21
	v_fmac_f32_e32 v19, 0x32a5705f, v21
	v_rndne_f32_e32 v21, v18
	v_sub_f32_e32 v18, v18, v21
	v_add_f32_e32 v18, v18, v19
	v_cvt_i32_f32_e32 v19, v21
	v_exp_f32_e32 v18, v18
	v_ldexp_f32 v18, v18, v19
	v_cndmask_b32_e32 v18, 0, v18, vcc
	v_cndmask_b32_e64 v18, v17, v18, s[2:3]
	v_mul_f32_e32 v8, v8, v18
	v_fma_f32 v18, v20, v8, 0
	ds_bpermute_b32 v19, v10, v18
	s_waitcnt lgkmcnt(0)
	v_add_f32_e32 v18, v18, v19
	ds_bpermute_b32 v19, v11, v18
	s_waitcnt lgkmcnt(0)
	v_add_f32_e32 v18, v18, v19
	ds_bpermute_b32 v19, v12, v18
	s_waitcnt lgkmcnt(0)
	v_add_f32_e32 v18, v18, v19
	ds_bpermute_b32 v19, v13, v18
	s_waitcnt lgkmcnt(0)
	v_add_f32_e32 v18, v18, v19
	ds_bpermute_b32 v19, v14, v18
	s_waitcnt lgkmcnt(0)
	v_add_f32_e32 v18, v18, v19
	global_load_dword v19, v[2:3], off
	s_waitcnt vmcnt(0)
	v_sub_f32_e32 v18, v19, v18
	global_load_dword v19, v9, s[16:17]
	s_waitcnt vmcnt(0)
	v_mul_f32_e32 v18, v19, v18
	v_fmac_f32_e32 v8, v20, v18
	v_mov_b32_e32 v19, s13
	v_add_co_u32_e32 v18, vcc, s12, v15
	v_addc_co_u32_e32 v19, vcc, v19, v16, vcc
	global_load_dword v18, v[18:19], off
	s_waitcnt vmcnt(0)
	v_fma_f32 v18, v18, v8, 0
	ds_bpermute_b32 v19, v10, v18
	s_waitcnt lgkmcnt(0)
	v_add_f32_e32 v18, v18, v19
	ds_bpermute_b32 v19, v11, v18
	s_waitcnt lgkmcnt(0)
	v_add_f32_e32 v18, v18, v19
	;; [unrolled: 3-line block ×4, first 2 shown]
	ds_bpermute_b32 v19, v14, v18
	s_and_saveexec_b64 s[2:3], s[0:1]
	s_cbranch_execz .LBB5_2
; %bb.4:                                ;   in Loop: Header=BB5_3 Depth=1
	s_waitcnt lgkmcnt(0)
	v_add_f32_e32 v18, v18, v19
	v_mul_f32_e32 v18, s30, v18
	global_store_dword v[6:7], v18, off
	s_branch .LBB5_2
.LBB5_5:
	s_mul_i32 s0, s26, s37
	s_mul_hi_u32 s1, s26, s36
	s_add_i32 s0, s1, s0
	s_mul_i32 s1, s27, s36
	s_mul_i32 s2, s26, s36
	s_add_i32 s0, s0, s1
	s_mul_i32 s1, s2, s39
	s_mul_hi_u32 s3, s2, s38
	s_add_i32 s1, s3, s1
	s_mul_i32 s0, s0, s38
	s_add_i32 s1, s1, s0
	s_mul_i32 s0, s2, s38
	s_lshl_b64 s[0:1], s[0:1], 7
	s_add_u32 s2, s24, s0
	s_addc_u32 s3, s25, s1
	s_add_u32 s0, s8, s6
	s_addc_u32 s1, s9, 0
	v_add_u32_e32 v0, v1, v0
	s_lshl_b64 s[0:1], s[0:1], 12
	v_ashrrev_i32_e32 v1, 31, v0
	s_add_u32 s0, s2, s0
	v_lshlrev_b64 v[0:1], 2, v[0:1]
	s_addc_u32 s1, s3, s1
	v_mov_b32_e32 v2, s1
	v_add_co_u32_e32 v0, vcc, s0, v0
	v_addc_co_u32_e32 v1, vcc, v2, v1, vcc
	s_waitcnt vmcnt(0)
	global_store_dword v[0:1], v8, off
	s_endpgm
	.section	.rodata,"a",@progbits
	.p2align	6, 0x0
	.amdhsa_kernel _Z20gated_delta_net_cudaILi32ELb1ELb0EEvPKfS1_S1_S1_S1_S1_Pfllllllllllll15HIP_vector_typeIjLj3EES4_fi
		.amdhsa_group_segment_fixed_size 0
		.amdhsa_private_segment_fixed_size 0
		.amdhsa_kernarg_size 440
		.amdhsa_user_sgpr_count 6
		.amdhsa_user_sgpr_private_segment_buffer 1
		.amdhsa_user_sgpr_dispatch_ptr 0
		.amdhsa_user_sgpr_queue_ptr 0
		.amdhsa_user_sgpr_kernarg_segment_ptr 1
		.amdhsa_user_sgpr_dispatch_id 0
		.amdhsa_user_sgpr_flat_scratch_init 0
		.amdhsa_user_sgpr_private_segment_size 0
		.amdhsa_uses_dynamic_stack 0
		.amdhsa_system_sgpr_private_segment_wavefront_offset 0
		.amdhsa_system_sgpr_workgroup_id_x 1
		.amdhsa_system_sgpr_workgroup_id_y 1
		.amdhsa_system_sgpr_workgroup_id_z 1
		.amdhsa_system_sgpr_workgroup_info 0
		.amdhsa_system_vgpr_workitem_id 1
		.amdhsa_next_free_vgpr 22
		.amdhsa_next_free_sgpr 56
		.amdhsa_reserve_vcc 1
		.amdhsa_reserve_flat_scratch 0
		.amdhsa_float_round_mode_32 0
		.amdhsa_float_round_mode_16_64 0
		.amdhsa_float_denorm_mode_32 3
		.amdhsa_float_denorm_mode_16_64 3
		.amdhsa_dx10_clamp 1
		.amdhsa_ieee_mode 1
		.amdhsa_fp16_overflow 0
		.amdhsa_exception_fp_ieee_invalid_op 0
		.amdhsa_exception_fp_denorm_src 0
		.amdhsa_exception_fp_ieee_div_zero 0
		.amdhsa_exception_fp_ieee_overflow 0
		.amdhsa_exception_fp_ieee_underflow 0
		.amdhsa_exception_fp_ieee_inexact 0
		.amdhsa_exception_int_div_zero 0
	.end_amdhsa_kernel
	.section	.text._Z20gated_delta_net_cudaILi32ELb1ELb0EEvPKfS1_S1_S1_S1_S1_Pfllllllllllll15HIP_vector_typeIjLj3EES4_fi,"axG",@progbits,_Z20gated_delta_net_cudaILi32ELb1ELb0EEvPKfS1_S1_S1_S1_S1_Pfllllllllllll15HIP_vector_typeIjLj3EES4_fi,comdat
.Lfunc_end5:
	.size	_Z20gated_delta_net_cudaILi32ELb1ELb0EEvPKfS1_S1_S1_S1_S1_Pfllllllllllll15HIP_vector_typeIjLj3EES4_fi, .Lfunc_end5-_Z20gated_delta_net_cudaILi32ELb1ELb0EEvPKfS1_S1_S1_S1_S1_Pfllllllllllll15HIP_vector_typeIjLj3EES4_fi
                                        ; -- End function
	.set _Z20gated_delta_net_cudaILi32ELb1ELb0EEvPKfS1_S1_S1_S1_S1_Pfllllllllllll15HIP_vector_typeIjLj3EES4_fi.num_vgpr, 22
	.set _Z20gated_delta_net_cudaILi32ELb1ELb0EEvPKfS1_S1_S1_S1_S1_Pfllllllllllll15HIP_vector_typeIjLj3EES4_fi.num_agpr, 0
	.set _Z20gated_delta_net_cudaILi32ELb1ELb0EEvPKfS1_S1_S1_S1_S1_Pfllllllllllll15HIP_vector_typeIjLj3EES4_fi.numbered_sgpr, 56
	.set _Z20gated_delta_net_cudaILi32ELb1ELb0EEvPKfS1_S1_S1_S1_S1_Pfllllllllllll15HIP_vector_typeIjLj3EES4_fi.num_named_barrier, 0
	.set _Z20gated_delta_net_cudaILi32ELb1ELb0EEvPKfS1_S1_S1_S1_S1_Pfllllllllllll15HIP_vector_typeIjLj3EES4_fi.private_seg_size, 0
	.set _Z20gated_delta_net_cudaILi32ELb1ELb0EEvPKfS1_S1_S1_S1_S1_Pfllllllllllll15HIP_vector_typeIjLj3EES4_fi.uses_vcc, 1
	.set _Z20gated_delta_net_cudaILi32ELb1ELb0EEvPKfS1_S1_S1_S1_S1_Pfllllllllllll15HIP_vector_typeIjLj3EES4_fi.uses_flat_scratch, 0
	.set _Z20gated_delta_net_cudaILi32ELb1ELb0EEvPKfS1_S1_S1_S1_S1_Pfllllllllllll15HIP_vector_typeIjLj3EES4_fi.has_dyn_sized_stack, 0
	.set _Z20gated_delta_net_cudaILi32ELb1ELb0EEvPKfS1_S1_S1_S1_S1_Pfllllllllllll15HIP_vector_typeIjLj3EES4_fi.has_recursion, 0
	.set _Z20gated_delta_net_cudaILi32ELb1ELb0EEvPKfS1_S1_S1_S1_S1_Pfllllllllllll15HIP_vector_typeIjLj3EES4_fi.has_indirect_call, 0
	.section	.AMDGPU.csdata,"",@progbits
; Kernel info:
; codeLenInByte = 1272
; TotalNumSgprs: 60
; NumVgprs: 22
; ScratchSize: 0
; MemoryBound: 0
; FloatMode: 240
; IeeeMode: 1
; LDSByteSize: 0 bytes/workgroup (compile time only)
; SGPRBlocks: 7
; VGPRBlocks: 5
; NumSGPRsForWavesPerEU: 60
; NumVGPRsForWavesPerEU: 22
; Occupancy: 10
; WaveLimiterHint : 0
; COMPUTE_PGM_RSRC2:SCRATCH_EN: 0
; COMPUTE_PGM_RSRC2:USER_SGPR: 6
; COMPUTE_PGM_RSRC2:TRAP_HANDLER: 0
; COMPUTE_PGM_RSRC2:TGID_X_EN: 1
; COMPUTE_PGM_RSRC2:TGID_Y_EN: 1
; COMPUTE_PGM_RSRC2:TGID_Z_EN: 1
; COMPUTE_PGM_RSRC2:TIDIG_COMP_CNT: 1
	.section	.text._Z20gated_delta_net_cudaILi64ELb1ELb0EEvPKfS1_S1_S1_S1_S1_Pfllllllllllll15HIP_vector_typeIjLj3EES4_fi,"axG",@progbits,_Z20gated_delta_net_cudaILi64ELb1ELb0EEvPKfS1_S1_S1_S1_S1_Pfllllllllllll15HIP_vector_typeIjLj3EES4_fi,comdat
	.protected	_Z20gated_delta_net_cudaILi64ELb1ELb0EEvPKfS1_S1_S1_S1_S1_Pfllllllllllll15HIP_vector_typeIjLj3EES4_fi ; -- Begin function _Z20gated_delta_net_cudaILi64ELb1ELb0EEvPKfS1_S1_S1_S1_S1_Pfllllllllllll15HIP_vector_typeIjLj3EES4_fi
	.globl	_Z20gated_delta_net_cudaILi64ELb1ELb0EEvPKfS1_S1_S1_S1_S1_Pfllllllllllll15HIP_vector_typeIjLj3EES4_fi
	.p2align	8
	.type	_Z20gated_delta_net_cudaILi64ELb1ELb0EEvPKfS1_S1_S1_S1_S1_Pfllllllllllll15HIP_vector_typeIjLj3EES4_fi,@function
_Z20gated_delta_net_cudaILi64ELb1ELb0EEvPKfS1_S1_S1_S1_S1_Pfllllllllllll15HIP_vector_typeIjLj3EES4_fi: ; @_Z20gated_delta_net_cudaILi64ELb1ELb0EEvPKfS1_S1_S1_S1_S1_Pfllllllllllll15HIP_vector_typeIjLj3EES4_fi
; %bb.0:
	s_load_dword s0, s[4:5], 0xc4
	s_load_dwordx16 s[12:27], s[4:5], 0x0
	s_mov_b32 s1, 0
	s_load_dwordx16 s[36:51], s[4:5], 0x40
	v_mov_b32_e32 v9, 0
	s_waitcnt lgkmcnt(0)
	s_lshr_b32 s0, s0, 16
	s_mul_i32 s8, s8, s0
	s_mul_i32 s0, s27, s7
	s_mul_hi_u32 s2, s26, s7
	v_add_u32_e32 v3, s8, v1
	s_add_i32 s9, s2, s0
	s_mul_i32 s8, s26, s7
	s_lshl_b32 s0, s6, 12
	s_lshl_b64 s[2:3], s[8:9], 14
	v_lshlrev_b32_e32 v1, 6, v3
	s_add_u32 s2, s22, s2
	v_ashrrev_i32_e32 v2, 31, v1
	s_addc_u32 s3, s23, s3
	s_lshl_b64 s[0:1], s[0:1], 2
	s_add_u32 s0, s2, s0
	v_lshlrev_b64 v[4:5], 2, v[1:2]
	s_addc_u32 s1, s3, s1
	v_mov_b32_e32 v2, s1
	v_add_co_u32_e32 v4, vcc, s0, v4
	v_addc_co_u32_e32 v2, vcc, v2, v5, vcc
	v_lshlrev_b32_e32 v5, 2, v0
	v_add_co_u32_e32 v6, vcc, v4, v5
	v_addc_co_u32_e32 v7, vcc, 0, v2, vcc
	global_load_dword v8, v[6:7], off
	v_cmp_lt_i64_e64 s[0:1], s[36:37], 1
	s_and_b64 vcc, exec, s[0:1]
	s_cbranch_vccnz .LBB6_5
; %bb.1:
	v_mbcnt_lo_u32_b32 v2, -1, 0
	v_mbcnt_hi_u32_b32 v2, -1, v2
	s_load_dwordx4 s[0:3], s[4:5], 0x80
	s_load_dwordx2 s[10:11], s[4:5], 0x90
	s_load_dwordx4 s[52:55], s[4:5], 0x98
	s_load_dword s28, s[4:5], 0xa8
	s_load_dword s30, s[4:5], 0xb0
	s_mul_i32 s4, s8, s37
	s_mul_hi_u32 s5, s8, s36
	v_and_b32_e32 v4, 64, v2
	s_add_i32 s4, s5, s4
	s_mul_i32 s5, s9, s36
	v_add_u32_e32 v4, 64, v4
	v_xor_b32_e32 v6, 32, v2
	s_add_i32 s5, s4, s5
	s_mul_i32 s4, s8, s36
	v_cmp_lt_i32_e32 vcc, v6, v4
	s_add_u32 s4, s4, s6
	v_cndmask_b32_e32 v6, v2, v6, vcc
	s_addc_u32 s5, s5, 0
	v_lshlrev_b32_e32 v10, 2, v6
	v_xor_b32_e32 v6, 16, v2
	s_lshl_b64 s[22:23], s[4:5], 8
	s_waitcnt lgkmcnt(0)
	s_mul_hi_u32 s4, s55, s7
	v_cmp_lt_i32_e32 vcc, v6, v4
	s_add_i32 s4, s7, s4
	v_cndmask_b32_e32 v6, v2, v6, vcc
	s_lshr_b32 s28, s4, s28
	s_mul_hi_u32 s4, s52, s6
	v_lshlrev_b32_e32 v11, 2, v6
	v_xor_b32_e32 v6, 8, v2
	s_add_i32 s4, s6, s4
	v_cmp_lt_i32_e32 vcc, v6, v4
	s_lshr_b32 s4, s4, s53
	v_cndmask_b32_e32 v6, v2, v6, vcc
	s_mul_i32 s4, s4, s54
	v_lshlrev_b32_e32 v12, 2, v6
	v_xor_b32_e32 v6, 4, v2
	s_sub_i32 s29, s6, s4
	s_mul_i32 s4, s51, s7
	s_mul_hi_u32 s5, s50, s7
	v_cmp_lt_i32_e32 vcc, v6, v4
	s_add_i32 s5, s5, s4
	s_mul_i32 s4, s50, s7
	v_cndmask_b32_e32 v6, v2, v6, vcc
	s_lshl_b64 s[4:5], s[4:5], 2
	v_lshlrev_b32_e32 v13, 2, v6
	v_xor_b32_e32 v6, 2, v2
	s_add_u32 s16, s16, s4
	v_cmp_lt_i32_e32 vcc, v6, v4
	s_addc_u32 s17, s17, s5
	s_mul_i32 s4, s47, s6
	s_mul_hi_u32 s5, s46, s6
	v_cndmask_b32_e32 v6, v2, v6, vcc
	s_add_i32 s5, s5, s4
	s_mul_i32 s4, s46, s6
	v_lshlrev_b32_e32 v14, 2, v6
	v_xor_b32_e32 v6, 1, v2
	s_lshl_b64 s[4:5], s[4:5], 2
	v_cmp_lt_i32_e32 vcc, v6, v4
	v_ashrrev_i32_e32 v4, 31, v3
	s_add_u32 s4, s16, s4
	v_cndmask_b32_e32 v2, v2, v6, vcc
	v_lshlrev_b64 v[6:7], 2, v[3:4]
	s_addc_u32 s5, s17, s5
	s_mul_i32 s11, s11, s7
	s_mul_hi_u32 s16, s10, s7
	s_mul_i32 s7, s10, s7
	s_mul_i32 s1, s1, s6
	s_mul_hi_u32 s10, s0, s6
	s_add_i32 s16, s16, s11
	s_add_i32 s17, s10, s1
	v_lshlrev_b32_e32 v15, 2, v2
	v_mov_b32_e32 v3, s5
	v_add_co_u32_e32 v2, vcc, s4, v6
	s_mul_i32 s4, s45, s28
	s_mul_hi_u32 s5, s44, s28
	s_mul_i32 s10, s41, s29
	s_mul_hi_u32 s11, s40, s29
	s_add_i32 s5, s5, s4
	s_mul_i32 s4, s44, s28
	s_add_i32 s11, s11, s10
	s_mul_i32 s10, s40, s29
	s_lshl_b64 s[4:5], s[4:5], 2
	s_lshl_b64 s[10:11], s[10:11], 2
	s_add_u32 s4, s4, s10
	v_addc_co_u32_e32 v3, vcc, v3, v7, vcc
	s_addc_u32 s5, s5, s11
	s_mul_i32 s31, s0, s6
	v_mov_b32_e32 v4, s5
	v_add_co_u32_e32 v16, vcc, s4, v5
	s_lshl_b64 s[4:5], s[42:43], 2
	s_lshl_b64 s[10:11], s[48:49], 2
	s_add_u32 s28, s7, s31
	s_addc_u32 s29, s16, s17
	s_lshl_b64 s[16:17], s[28:29], 2
	s_add_u32 s16, s20, s16
	s_addc_u32 s17, s21, s17
	s_lshl_b64 s[20:21], s[2:3], 2
	s_lshl_b64 s[28:29], s[28:29], 8
	s_add_u32 s7, s18, s28
	s_addc_u32 s18, s19, s29
	v_addc_co_u32_e32 v17, vcc, 0, v4, vcc
	v_mov_b32_e32 v18, s18
	s_lshl_b64 s[18:19], s[2:3], 8
	v_add_co_u32_e32 v4, vcc, s7, v5
	s_add_u32 s2, s24, s22
	v_addc_co_u32_e32 v5, vcc, 0, v18, vcc
	s_addc_u32 s3, s25, s23
	v_mov_b32_e32 v18, s3
	v_add_co_u32_e32 v6, vcc, s2, v6
	v_cmp_eq_u32_e64 s[0:1], 0, v0
	v_addc_co_u32_e32 v7, vcc, v18, v7, vcc
	s_lshl_b64 s[22:23], s[26:27], 8
	s_mov_b64 s[28:29], 0
	s_mov_b32 s7, 0x3fb8aa3b
	s_mov_b32 s31, 0xc2ce8ed0
	;; [unrolled: 1-line block ×3, first 2 shown]
	v_mov_b32_e32 v18, 0x7f800000
	s_branch .LBB6_3
.LBB6_2:                                ;   in Loop: Header=BB6_3 Depth=1
	s_or_b64 exec, exec, s[2:3]
	v_mov_b32_e32 v19, s5
	v_add_co_u32_e32 v16, vcc, s4, v16
	v_addc_co_u32_e32 v17, vcc, v17, v19, vcc
	v_mov_b32_e32 v19, s11
	v_add_co_u32_e32 v2, vcc, s10, v2
	v_addc_co_u32_e32 v3, vcc, v3, v19, vcc
	s_add_u32 s28, s28, 1
	v_mov_b32_e32 v19, s19
	v_add_co_u32_e32 v4, vcc, s18, v4
	s_addc_u32 s29, s29, 0
	v_addc_co_u32_e32 v5, vcc, v5, v19, vcc
	s_waitcnt lgkmcnt(0)
	v_mov_b32_e32 v19, s28
	v_mov_b32_e32 v20, s29
	v_cmp_le_i64_e32 vcc, s[36:37], v[19:20]
	s_add_u32 s16, s16, s20
	v_mov_b32_e32 v21, s23
	v_add_co_u32_e64 v6, s[2:3], s22, v6
	s_addc_u32 s17, s17, s21
	v_addc_co_u32_e64 v7, s[2:3], v7, v21, s[2:3]
	s_cbranch_vccnz .LBB6_5
.LBB6_3:                                ; =>This Inner Loop Header: Depth=1
	v_mov_b32_e32 v20, s15
	v_add_co_u32_e32 v19, vcc, s14, v16
	v_addc_co_u32_e32 v20, vcc, v20, v17, vcc
	global_load_dword v21, v[19:20], off
	global_load_dword v22, v[4:5], off
	s_waitcnt vmcnt(0)
	v_mul_f32_e32 v19, 0x3fb8aa3b, v22
	v_fma_f32 v20, v22, s7, -v19
	v_cmp_ngt_f32_e32 vcc, s31, v22
	v_cmp_nlt_f32_e64 s[2:3], s33, v22
	v_fmac_f32_e32 v20, 0x32a5705f, v22
	v_rndne_f32_e32 v22, v19
	v_sub_f32_e32 v19, v19, v22
	v_add_f32_e32 v19, v19, v20
	v_cvt_i32_f32_e32 v20, v22
	v_exp_f32_e32 v19, v19
	v_ldexp_f32 v19, v19, v20
	v_cndmask_b32_e32 v19, 0, v19, vcc
	v_cndmask_b32_e64 v19, v18, v19, s[2:3]
	v_mul_f32_e32 v8, v8, v19
	v_fma_f32 v19, v21, v8, 0
	ds_bpermute_b32 v20, v10, v19
	s_waitcnt lgkmcnt(0)
	v_add_f32_e32 v19, v19, v20
	ds_bpermute_b32 v20, v11, v19
	s_waitcnt lgkmcnt(0)
	v_add_f32_e32 v19, v19, v20
	;; [unrolled: 3-line block ×6, first 2 shown]
	global_load_dword v20, v[2:3], off
	s_waitcnt vmcnt(0)
	v_sub_f32_e32 v19, v20, v19
	global_load_dword v20, v9, s[16:17]
	s_waitcnt vmcnt(0)
	v_mul_f32_e32 v19, v20, v19
	v_fmac_f32_e32 v8, v21, v19
	v_mov_b32_e32 v20, s13
	v_add_co_u32_e32 v19, vcc, s12, v16
	v_addc_co_u32_e32 v20, vcc, v20, v17, vcc
	global_load_dword v19, v[19:20], off
	s_waitcnt vmcnt(0)
	v_fma_f32 v19, v19, v8, 0
	ds_bpermute_b32 v20, v10, v19
	s_waitcnt lgkmcnt(0)
	v_add_f32_e32 v19, v19, v20
	ds_bpermute_b32 v20, v11, v19
	s_waitcnt lgkmcnt(0)
	v_add_f32_e32 v19, v19, v20
	;; [unrolled: 3-line block ×5, first 2 shown]
	ds_bpermute_b32 v20, v15, v19
	s_and_saveexec_b64 s[2:3], s[0:1]
	s_cbranch_execz .LBB6_2
; %bb.4:                                ;   in Loop: Header=BB6_3 Depth=1
	s_waitcnt lgkmcnt(0)
	v_add_f32_e32 v19, v19, v20
	v_mul_f32_e32 v19, s30, v19
	global_store_dword v[6:7], v19, off
	s_branch .LBB6_2
.LBB6_5:
	s_mul_i32 s0, s26, s37
	s_mul_hi_u32 s1, s26, s36
	s_add_i32 s0, s1, s0
	s_mul_i32 s1, s27, s36
	s_mul_i32 s2, s26, s36
	s_add_i32 s0, s0, s1
	s_mul_i32 s1, s2, s39
	s_mul_hi_u32 s3, s2, s38
	s_add_i32 s1, s3, s1
	s_mul_i32 s0, s0, s38
	s_add_i32 s1, s1, s0
	s_mul_i32 s0, s2, s38
	s_lshl_b64 s[0:1], s[0:1], 8
	s_add_u32 s2, s24, s0
	s_addc_u32 s3, s25, s1
	s_add_u32 s0, s8, s6
	s_addc_u32 s1, s9, 0
	v_add_u32_e32 v0, v1, v0
	s_lshl_b64 s[0:1], s[0:1], 14
	v_ashrrev_i32_e32 v1, 31, v0
	s_add_u32 s0, s2, s0
	v_lshlrev_b64 v[0:1], 2, v[0:1]
	s_addc_u32 s1, s3, s1
	v_mov_b32_e32 v2, s1
	v_add_co_u32_e32 v0, vcc, s0, v0
	v_addc_co_u32_e32 v1, vcc, v2, v1, vcc
	s_waitcnt vmcnt(0)
	global_store_dword v[0:1], v8, off
	s_endpgm
	.section	.rodata,"a",@progbits
	.p2align	6, 0x0
	.amdhsa_kernel _Z20gated_delta_net_cudaILi64ELb1ELb0EEvPKfS1_S1_S1_S1_S1_Pfllllllllllll15HIP_vector_typeIjLj3EES4_fi
		.amdhsa_group_segment_fixed_size 0
		.amdhsa_private_segment_fixed_size 0
		.amdhsa_kernarg_size 440
		.amdhsa_user_sgpr_count 6
		.amdhsa_user_sgpr_private_segment_buffer 1
		.amdhsa_user_sgpr_dispatch_ptr 0
		.amdhsa_user_sgpr_queue_ptr 0
		.amdhsa_user_sgpr_kernarg_segment_ptr 1
		.amdhsa_user_sgpr_dispatch_id 0
		.amdhsa_user_sgpr_flat_scratch_init 0
		.amdhsa_user_sgpr_private_segment_size 0
		.amdhsa_uses_dynamic_stack 0
		.amdhsa_system_sgpr_private_segment_wavefront_offset 0
		.amdhsa_system_sgpr_workgroup_id_x 1
		.amdhsa_system_sgpr_workgroup_id_y 1
		.amdhsa_system_sgpr_workgroup_id_z 1
		.amdhsa_system_sgpr_workgroup_info 0
		.amdhsa_system_vgpr_workitem_id 1
		.amdhsa_next_free_vgpr 23
		.amdhsa_next_free_sgpr 56
		.amdhsa_reserve_vcc 1
		.amdhsa_reserve_flat_scratch 0
		.amdhsa_float_round_mode_32 0
		.amdhsa_float_round_mode_16_64 0
		.amdhsa_float_denorm_mode_32 3
		.amdhsa_float_denorm_mode_16_64 3
		.amdhsa_dx10_clamp 1
		.amdhsa_ieee_mode 1
		.amdhsa_fp16_overflow 0
		.amdhsa_exception_fp_ieee_invalid_op 0
		.amdhsa_exception_fp_denorm_src 0
		.amdhsa_exception_fp_ieee_div_zero 0
		.amdhsa_exception_fp_ieee_overflow 0
		.amdhsa_exception_fp_ieee_underflow 0
		.amdhsa_exception_fp_ieee_inexact 0
		.amdhsa_exception_int_div_zero 0
	.end_amdhsa_kernel
	.section	.text._Z20gated_delta_net_cudaILi64ELb1ELb0EEvPKfS1_S1_S1_S1_S1_Pfllllllllllll15HIP_vector_typeIjLj3EES4_fi,"axG",@progbits,_Z20gated_delta_net_cudaILi64ELb1ELb0EEvPKfS1_S1_S1_S1_S1_Pfllllllllllll15HIP_vector_typeIjLj3EES4_fi,comdat
.Lfunc_end6:
	.size	_Z20gated_delta_net_cudaILi64ELb1ELb0EEvPKfS1_S1_S1_S1_S1_Pfllllllllllll15HIP_vector_typeIjLj3EES4_fi, .Lfunc_end6-_Z20gated_delta_net_cudaILi64ELb1ELb0EEvPKfS1_S1_S1_S1_S1_Pfllllllllllll15HIP_vector_typeIjLj3EES4_fi
                                        ; -- End function
	.set _Z20gated_delta_net_cudaILi64ELb1ELb0EEvPKfS1_S1_S1_S1_S1_Pfllllllllllll15HIP_vector_typeIjLj3EES4_fi.num_vgpr, 23
	.set _Z20gated_delta_net_cudaILi64ELb1ELb0EEvPKfS1_S1_S1_S1_S1_Pfllllllllllll15HIP_vector_typeIjLj3EES4_fi.num_agpr, 0
	.set _Z20gated_delta_net_cudaILi64ELb1ELb0EEvPKfS1_S1_S1_S1_S1_Pfllllllllllll15HIP_vector_typeIjLj3EES4_fi.numbered_sgpr, 56
	.set _Z20gated_delta_net_cudaILi64ELb1ELb0EEvPKfS1_S1_S1_S1_S1_Pfllllllllllll15HIP_vector_typeIjLj3EES4_fi.num_named_barrier, 0
	.set _Z20gated_delta_net_cudaILi64ELb1ELb0EEvPKfS1_S1_S1_S1_S1_Pfllllllllllll15HIP_vector_typeIjLj3EES4_fi.private_seg_size, 0
	.set _Z20gated_delta_net_cudaILi64ELb1ELb0EEvPKfS1_S1_S1_S1_S1_Pfllllllllllll15HIP_vector_typeIjLj3EES4_fi.uses_vcc, 1
	.set _Z20gated_delta_net_cudaILi64ELb1ELb0EEvPKfS1_S1_S1_S1_S1_Pfllllllllllll15HIP_vector_typeIjLj3EES4_fi.uses_flat_scratch, 0
	.set _Z20gated_delta_net_cudaILi64ELb1ELb0EEvPKfS1_S1_S1_S1_S1_Pfllllllllllll15HIP_vector_typeIjLj3EES4_fi.has_dyn_sized_stack, 0
	.set _Z20gated_delta_net_cudaILi64ELb1ELb0EEvPKfS1_S1_S1_S1_S1_Pfllllllllllll15HIP_vector_typeIjLj3EES4_fi.has_recursion, 0
	.set _Z20gated_delta_net_cudaILi64ELb1ELb0EEvPKfS1_S1_S1_S1_S1_Pfllllllllllll15HIP_vector_typeIjLj3EES4_fi.has_indirect_call, 0
	.section	.AMDGPU.csdata,"",@progbits
; Kernel info:
; codeLenInByte = 1316
; TotalNumSgprs: 60
; NumVgprs: 23
; ScratchSize: 0
; MemoryBound: 0
; FloatMode: 240
; IeeeMode: 1
; LDSByteSize: 0 bytes/workgroup (compile time only)
; SGPRBlocks: 7
; VGPRBlocks: 5
; NumSGPRsForWavesPerEU: 60
; NumVGPRsForWavesPerEU: 23
; Occupancy: 10
; WaveLimiterHint : 0
; COMPUTE_PGM_RSRC2:SCRATCH_EN: 0
; COMPUTE_PGM_RSRC2:USER_SGPR: 6
; COMPUTE_PGM_RSRC2:TRAP_HANDLER: 0
; COMPUTE_PGM_RSRC2:TGID_X_EN: 1
; COMPUTE_PGM_RSRC2:TGID_Y_EN: 1
; COMPUTE_PGM_RSRC2:TGID_Z_EN: 1
; COMPUTE_PGM_RSRC2:TIDIG_COMP_CNT: 1
	.section	.text._Z20gated_delta_net_cudaILi128ELb1ELb0EEvPKfS1_S1_S1_S1_S1_Pfllllllllllll15HIP_vector_typeIjLj3EES4_fi,"axG",@progbits,_Z20gated_delta_net_cudaILi128ELb1ELb0EEvPKfS1_S1_S1_S1_S1_Pfllllllllllll15HIP_vector_typeIjLj3EES4_fi,comdat
	.protected	_Z20gated_delta_net_cudaILi128ELb1ELb0EEvPKfS1_S1_S1_S1_S1_Pfllllllllllll15HIP_vector_typeIjLj3EES4_fi ; -- Begin function _Z20gated_delta_net_cudaILi128ELb1ELb0EEvPKfS1_S1_S1_S1_S1_Pfllllllllllll15HIP_vector_typeIjLj3EES4_fi
	.globl	_Z20gated_delta_net_cudaILi128ELb1ELb0EEvPKfS1_S1_S1_S1_S1_Pfllllllllllll15HIP_vector_typeIjLj3EES4_fi
	.p2align	8
	.type	_Z20gated_delta_net_cudaILi128ELb1ELb0EEvPKfS1_S1_S1_S1_S1_Pfllllllllllll15HIP_vector_typeIjLj3EES4_fi,@function
_Z20gated_delta_net_cudaILi128ELb1ELb0EEvPKfS1_S1_S1_S1_S1_Pfllllllllllll15HIP_vector_typeIjLj3EES4_fi: ; @_Z20gated_delta_net_cudaILi128ELb1ELb0EEvPKfS1_S1_S1_S1_S1_Pfllllllllllll15HIP_vector_typeIjLj3EES4_fi
; %bb.0:
	s_load_dword s0, s[4:5], 0xc4
	s_load_dwordx16 s[12:27], s[4:5], 0x0
	s_mov_b32 s1, 0
	v_lshlrev_b32_e32 v6, 2, v0
	s_load_dwordx16 s[36:51], s[4:5], 0x40
	s_waitcnt lgkmcnt(0)
	s_lshr_b32 s0, s0, 16
	s_mul_i32 s8, s8, s0
	s_mul_i32 s0, s27, s7
	s_mul_hi_u32 s2, s26, s7
	v_add_u32_e32 v3, s8, v1
	s_add_i32 s9, s2, s0
	s_mul_i32 s8, s26, s7
	s_lshl_b32 s0, s6, 14
	s_lshl_b64 s[2:3], s[8:9], 16
	v_lshlrev_b32_e32 v1, 7, v3
	s_add_u32 s2, s22, s2
	v_ashrrev_i32_e32 v2, 31, v1
	s_addc_u32 s3, s23, s3
	s_lshl_b64 s[0:1], s[0:1], 2
	s_add_u32 s0, s2, s0
	v_lshlrev_b64 v[4:5], 2, v[1:2]
	s_addc_u32 s1, s3, s1
	v_mov_b32_e32 v2, s1
	v_add_co_u32_e32 v4, vcc, s0, v4
	v_addc_co_u32_e32 v2, vcc, v2, v5, vcc
	v_add_co_u32_e32 v4, vcc, v4, v6
	v_addc_co_u32_e32 v5, vcc, 0, v2, vcc
	global_load_dword v8, v[4:5], off
	global_load_dword v9, v[4:5], off offset:256
	v_cmp_lt_i64_e64 s[0:1], s[36:37], 1
	v_mov_b32_e32 v10, 0
	s_and_b64 vcc, exec, s[0:1]
	s_cbranch_vccnz .LBB7_5
; %bb.1:
	v_mbcnt_lo_u32_b32 v2, -1, 0
	v_mbcnt_hi_u32_b32 v2, -1, v2
	v_and_b32_e32 v4, 64, v2
	v_add_u32_e32 v4, 64, v4
	v_xor_b32_e32 v5, 32, v2
	s_load_dwordx4 s[0:3], s[4:5], 0x80
	s_load_dwordx2 s[10:11], s[4:5], 0x90
	s_load_dwordx4 s[52:55], s[4:5], 0x98
	s_load_dword s22, s[4:5], 0xa8
	s_load_dword s30, s[4:5], 0xb0
	s_mul_i32 s4, s8, s37
	s_mul_hi_u32 s5, s8, s36
	v_cmp_lt_i32_e32 vcc, v5, v4
	s_add_i32 s4, s5, s4
	s_mul_i32 s5, s9, s36
	v_cndmask_b32_e32 v5, v2, v5, vcc
	s_add_i32 s5, s4, s5
	s_mul_i32 s4, s8, s36
	v_lshlrev_b32_e32 v11, 2, v5
	v_xor_b32_e32 v5, 16, v2
	s_add_u32 s4, s4, s6
	s_waitcnt lgkmcnt(0)
	s_mul_hi_u32 s23, s55, s7
	v_cmp_lt_i32_e32 vcc, v5, v4
	s_addc_u32 s5, s5, 0
	s_add_i32 s23, s7, s23
	v_cndmask_b32_e32 v5, v2, v5, vcc
	s_lshr_b32 s28, s23, s22
	s_mul_hi_u32 s22, s52, s6
	v_lshlrev_b32_e32 v12, 2, v5
	v_xor_b32_e32 v5, 8, v2
	s_add_i32 s22, s6, s22
	v_cmp_lt_i32_e32 vcc, v5, v4
	s_lshr_b32 s22, s22, s53
	v_cndmask_b32_e32 v5, v2, v5, vcc
	s_mul_i32 s22, s22, s54
	v_lshlrev_b32_e32 v13, 2, v5
	v_xor_b32_e32 v5, 4, v2
	s_sub_i32 s29, s6, s22
	s_mul_i32 s22, s51, s7
	s_mul_hi_u32 s23, s50, s7
	v_cmp_lt_i32_e32 vcc, v5, v4
	s_add_i32 s23, s23, s22
	s_mul_i32 s22, s50, s7
	v_cndmask_b32_e32 v5, v2, v5, vcc
	s_lshl_b64 s[4:5], s[4:5], 9
	s_lshl_b64 s[22:23], s[22:23], 2
	v_lshlrev_b32_e32 v14, 2, v5
	v_xor_b32_e32 v5, 2, v2
	s_add_u32 s22, s16, s22
	v_cmp_lt_i32_e32 vcc, v5, v4
	s_addc_u32 s23, s17, s23
	s_mul_i32 s16, s47, s6
	s_mul_hi_u32 s17, s46, s6
	v_cndmask_b32_e32 v5, v2, v5, vcc
	s_add_i32 s17, s17, s16
	s_mul_i32 s16, s46, s6
	v_lshlrev_b32_e32 v15, 2, v5
	v_xor_b32_e32 v5, 1, v2
	s_lshl_b64 s[16:17], s[16:17], 2
	v_cmp_lt_i32_e32 vcc, v5, v4
	v_ashrrev_i32_e32 v4, 31, v3
	s_add_u32 s16, s22, s16
	s_mul_i32 s11, s11, s7
	s_mul_hi_u32 s22, s10, s7
	s_mul_i32 s7, s10, s7
	s_mul_i32 s1, s1, s6
	s_mul_hi_u32 s10, s0, s6
	v_cndmask_b32_e32 v2, v2, v5, vcc
	v_lshlrev_b64 v[4:5], 2, v[3:4]
	s_addc_u32 s17, s23, s17
	s_add_i32 s23, s22, s11
	s_add_i32 s31, s10, s1
	v_lshlrev_b32_e32 v16, 2, v2
	v_mov_b32_e32 v3, s17
	v_add_co_u32_e32 v2, vcc, s16, v4
	s_add_u32 s4, s24, s4
	s_mul_i32 s10, s45, s28
	s_mul_hi_u32 s11, s44, s28
	s_mul_i32 s16, s41, s29
	s_mul_hi_u32 s17, s40, s29
	v_addc_co_u32_e32 v3, vcc, v3, v5, vcc
	s_addc_u32 s5, s25, s5
	s_add_i32 s11, s11, s10
	s_mul_i32 s10, s44, s28
	s_add_i32 s17, s17, s16
	s_mul_i32 s16, s40, s29
	v_mov_b32_e32 v7, s5
	v_add_co_u32_e32 v4, vcc, s4, v4
	s_lshl_b64 s[4:5], s[26:27], 9
	s_lshl_b64 s[10:11], s[10:11], 2
	;; [unrolled: 1-line block ×3, first 2 shown]
	s_add_u32 s10, s10, s16
	v_addc_co_u32_e32 v5, vcc, v7, v5, vcc
	s_addc_u32 s11, s11, s17
	s_mul_i32 s22, s0, s6
	v_mov_b32_e32 v7, s11
	v_add_co_u32_e32 v17, vcc, s10, v6
	s_lshl_b64 s[10:11], s[42:43], 2
	s_add_u32 s22, s7, s22
	s_addc_u32 s23, s23, s31
	v_addc_co_u32_e32 v7, vcc, 0, v7, vcc
	s_movk_i32 s28, 0x100
	s_lshl_b64 s[16:17], s[22:23], 9
	v_add_co_u32_e32 v17, vcc, s28, v17
	s_add_u32 s7, s18, s16
	v_addc_co_u32_e32 v18, vcc, 0, v7, vcc
	s_addc_u32 s16, s19, s17
	v_mov_b32_e32 v7, s16
	v_add_co_u32_e32 v6, vcc, s7, v6
	v_addc_co_u32_e32 v7, vcc, 0, v7, vcc
	s_lshl_b64 s[16:17], s[2:3], 9
	s_lshl_b64 s[18:19], s[48:49], 2
	;; [unrolled: 1-line block ×3, first 2 shown]
	v_add_co_u32_e32 v6, vcc, s28, v6
	s_add_u32 s20, s20, s22
	v_cmp_eq_u32_e64 s[0:1], 0, v0
	v_addc_co_u32_e32 v7, vcc, 0, v7, vcc
	s_addc_u32 s21, s21, s23
	s_lshl_b64 s[22:23], s[2:3], 2
	s_mov_b64 s[28:29], 0
	s_mov_b32 s7, 0x3fb8aa3b
	s_mov_b32 s31, 0xc2ce8ed0
	;; [unrolled: 1-line block ×3, first 2 shown]
	v_mov_b32_e32 v19, 0x7f800000
	s_branch .LBB7_3
.LBB7_2:                                ;   in Loop: Header=BB7_3 Depth=1
	s_or_b64 exec, exec, s[2:3]
	v_mov_b32_e32 v20, s5
	v_add_co_u32_e32 v4, vcc, s4, v4
	v_addc_co_u32_e32 v5, vcc, v5, v20, vcc
	v_mov_b32_e32 v20, s11
	v_add_co_u32_e32 v17, vcc, s10, v17
	v_addc_co_u32_e32 v18, vcc, v18, v20, vcc
	;; [unrolled: 3-line block ×3, first 2 shown]
	s_add_u32 s28, s28, 1
	v_mov_b32_e32 v20, s19
	v_add_co_u32_e32 v2, vcc, s18, v2
	s_addc_u32 s29, s29, 0
	v_addc_co_u32_e32 v3, vcc, v3, v20, vcc
	s_waitcnt lgkmcnt(0)
	v_mov_b32_e32 v20, s28
	v_mov_b32_e32 v21, s29
	v_cmp_le_i64_e32 vcc, s[36:37], v[20:21]
	s_add_u32 s20, s20, s22
	s_addc_u32 s21, s21, s23
	s_cbranch_vccnz .LBB7_5
.LBB7_3:                                ; =>This Inner Loop Header: Depth=1
	global_load_dword v22, v[6:7], off offset:-256
	global_load_dword v23, v[6:7], off
	v_mov_b32_e32 v21, s15
	v_add_co_u32_e32 v20, vcc, s14, v17
	v_addc_co_u32_e32 v21, vcc, v21, v18, vcc
	global_load_dword v25, v[20:21], off offset:-256
	global_load_dword v26, v[20:21], off
	v_mov_b32_e32 v24, s13
	v_add_co_u32_e32 v20, vcc, s12, v17
	v_addc_co_u32_e32 v21, vcc, v24, v18, vcc
	global_load_dword v24, v[20:21], off offset:-256
	global_load_dword v27, v[20:21], off
	s_waitcnt vmcnt(5)
	v_mul_f32_e32 v20, 0x3fb8aa3b, v22
	v_fma_f32 v21, v22, s7, -v20
	v_rndne_f32_e32 v28, v20
	v_fmac_f32_e32 v21, 0x32a5705f, v22
	v_sub_f32_e32 v20, v20, v28
	v_add_f32_e32 v20, v20, v21
	s_waitcnt vmcnt(4)
	v_mul_f32_e32 v21, 0x3fb8aa3b, v23
	v_cvt_i32_f32_e32 v28, v28
	v_exp_f32_e32 v20, v20
	v_fma_f32 v29, v23, s7, -v21
	v_rndne_f32_e32 v30, v21
	v_fmac_f32_e32 v29, 0x32a5705f, v23
	v_sub_f32_e32 v21, v21, v30
	v_add_f32_e32 v21, v21, v29
	v_ldexp_f32 v20, v20, v28
	v_cvt_i32_f32_e32 v28, v30
	v_exp_f32_e32 v21, v21
	v_cmp_ngt_f32_e32 vcc, s31, v22
	v_cndmask_b32_e32 v20, 0, v20, vcc
	v_cmp_nlt_f32_e32 vcc, s33, v22
	v_ldexp_f32 v21, v21, v28
	global_load_dword v22, v[2:3], off
	v_cmp_ngt_f32_e64 s[2:3], s31, v23
	v_cndmask_b32_e64 v21, 0, v21, s[2:3]
	v_cmp_nlt_f32_e64 s[2:3], s33, v23
	global_load_dword v23, v10, s[20:21]
	v_cndmask_b32_e32 v20, v19, v20, vcc
	v_cndmask_b32_e64 v21, v19, v21, s[2:3]
	v_mul_f32_e32 v8, v8, v20
	v_mul_f32_e32 v9, v9, v21
	s_waitcnt vmcnt(5)
	v_fma_f32 v20, v25, v8, 0
	s_waitcnt vmcnt(4)
	v_fmac_f32_e32 v20, v26, v9
	ds_bpermute_b32 v21, v11, v20
	s_waitcnt lgkmcnt(0)
	v_add_f32_e32 v20, v20, v21
	ds_bpermute_b32 v21, v12, v20
	s_waitcnt lgkmcnt(0)
	v_add_f32_e32 v20, v20, v21
	;; [unrolled: 3-line block ×6, first 2 shown]
	s_waitcnt vmcnt(1)
	v_sub_f32_e32 v20, v22, v20
	s_waitcnt vmcnt(0)
	v_mul_f32_e32 v20, v23, v20
	v_fmac_f32_e32 v8, v20, v25
	v_fmac_f32_e32 v9, v20, v26
	v_fma_f32 v20, v24, v8, 0
	v_fmac_f32_e32 v20, v27, v9
	ds_bpermute_b32 v21, v11, v20
	s_waitcnt lgkmcnt(0)
	v_add_f32_e32 v20, v20, v21
	ds_bpermute_b32 v21, v12, v20
	s_waitcnt lgkmcnt(0)
	v_add_f32_e32 v20, v20, v21
	;; [unrolled: 3-line block ×5, first 2 shown]
	ds_bpermute_b32 v21, v16, v20
	s_and_saveexec_b64 s[2:3], s[0:1]
	s_cbranch_execz .LBB7_2
; %bb.4:                                ;   in Loop: Header=BB7_3 Depth=1
	s_waitcnt lgkmcnt(0)
	v_add_f32_e32 v20, v20, v21
	v_mul_f32_e32 v20, s30, v20
	global_store_dword v[4:5], v20, off
	s_branch .LBB7_2
.LBB7_5:
	s_mul_i32 s0, s26, s37
	s_mul_hi_u32 s1, s26, s36
	s_add_i32 s0, s1, s0
	s_mul_i32 s1, s27, s36
	s_mul_i32 s2, s26, s36
	s_add_i32 s0, s0, s1
	s_mul_i32 s1, s2, s39
	s_mul_hi_u32 s3, s2, s38
	s_add_i32 s1, s3, s1
	s_mul_i32 s0, s0, s38
	s_add_i32 s1, s1, s0
	s_mul_i32 s0, s2, s38
	s_lshl_b64 s[0:1], s[0:1], 9
	s_add_u32 s2, s24, s0
	s_addc_u32 s3, s25, s1
	s_add_u32 s0, s8, s6
	s_addc_u32 s1, s9, 0
	v_add_u32_e32 v0, v1, v0
	s_lshl_b64 s[0:1], s[0:1], 16
	v_ashrrev_i32_e32 v1, 31, v0
	s_add_u32 s0, s2, s0
	v_lshlrev_b64 v[0:1], 2, v[0:1]
	s_addc_u32 s1, s3, s1
	v_mov_b32_e32 v2, s1
	v_add_co_u32_e32 v0, vcc, s0, v0
	v_addc_co_u32_e32 v1, vcc, v2, v1, vcc
	s_waitcnt vmcnt(1)
	global_store_dword v[0:1], v8, off
	s_waitcnt vmcnt(1)
	global_store_dword v[0:1], v9, off offset:256
	s_endpgm
	.section	.rodata,"a",@progbits
	.p2align	6, 0x0
	.amdhsa_kernel _Z20gated_delta_net_cudaILi128ELb1ELb0EEvPKfS1_S1_S1_S1_S1_Pfllllllllllll15HIP_vector_typeIjLj3EES4_fi
		.amdhsa_group_segment_fixed_size 0
		.amdhsa_private_segment_fixed_size 0
		.amdhsa_kernarg_size 440
		.amdhsa_user_sgpr_count 6
		.amdhsa_user_sgpr_private_segment_buffer 1
		.amdhsa_user_sgpr_dispatch_ptr 0
		.amdhsa_user_sgpr_queue_ptr 0
		.amdhsa_user_sgpr_kernarg_segment_ptr 1
		.amdhsa_user_sgpr_dispatch_id 0
		.amdhsa_user_sgpr_flat_scratch_init 0
		.amdhsa_user_sgpr_private_segment_size 0
		.amdhsa_uses_dynamic_stack 0
		.amdhsa_system_sgpr_private_segment_wavefront_offset 0
		.amdhsa_system_sgpr_workgroup_id_x 1
		.amdhsa_system_sgpr_workgroup_id_y 1
		.amdhsa_system_sgpr_workgroup_id_z 1
		.amdhsa_system_sgpr_workgroup_info 0
		.amdhsa_system_vgpr_workitem_id 1
		.amdhsa_next_free_vgpr 31
		.amdhsa_next_free_sgpr 56
		.amdhsa_reserve_vcc 1
		.amdhsa_reserve_flat_scratch 0
		.amdhsa_float_round_mode_32 0
		.amdhsa_float_round_mode_16_64 0
		.amdhsa_float_denorm_mode_32 3
		.amdhsa_float_denorm_mode_16_64 3
		.amdhsa_dx10_clamp 1
		.amdhsa_ieee_mode 1
		.amdhsa_fp16_overflow 0
		.amdhsa_exception_fp_ieee_invalid_op 0
		.amdhsa_exception_fp_denorm_src 0
		.amdhsa_exception_fp_ieee_div_zero 0
		.amdhsa_exception_fp_ieee_overflow 0
		.amdhsa_exception_fp_ieee_underflow 0
		.amdhsa_exception_fp_ieee_inexact 0
		.amdhsa_exception_int_div_zero 0
	.end_amdhsa_kernel
	.section	.text._Z20gated_delta_net_cudaILi128ELb1ELb0EEvPKfS1_S1_S1_S1_S1_Pfllllllllllll15HIP_vector_typeIjLj3EES4_fi,"axG",@progbits,_Z20gated_delta_net_cudaILi128ELb1ELb0EEvPKfS1_S1_S1_S1_S1_Pfllllllllllll15HIP_vector_typeIjLj3EES4_fi,comdat
.Lfunc_end7:
	.size	_Z20gated_delta_net_cudaILi128ELb1ELb0EEvPKfS1_S1_S1_S1_S1_Pfllllllllllll15HIP_vector_typeIjLj3EES4_fi, .Lfunc_end7-_Z20gated_delta_net_cudaILi128ELb1ELb0EEvPKfS1_S1_S1_S1_S1_Pfllllllllllll15HIP_vector_typeIjLj3EES4_fi
                                        ; -- End function
	.set _Z20gated_delta_net_cudaILi128ELb1ELb0EEvPKfS1_S1_S1_S1_S1_Pfllllllllllll15HIP_vector_typeIjLj3EES4_fi.num_vgpr, 31
	.set _Z20gated_delta_net_cudaILi128ELb1ELb0EEvPKfS1_S1_S1_S1_S1_Pfllllllllllll15HIP_vector_typeIjLj3EES4_fi.num_agpr, 0
	.set _Z20gated_delta_net_cudaILi128ELb1ELb0EEvPKfS1_S1_S1_S1_S1_Pfllllllllllll15HIP_vector_typeIjLj3EES4_fi.numbered_sgpr, 56
	.set _Z20gated_delta_net_cudaILi128ELb1ELb0EEvPKfS1_S1_S1_S1_S1_Pfllllllllllll15HIP_vector_typeIjLj3EES4_fi.num_named_barrier, 0
	.set _Z20gated_delta_net_cudaILi128ELb1ELb0EEvPKfS1_S1_S1_S1_S1_Pfllllllllllll15HIP_vector_typeIjLj3EES4_fi.private_seg_size, 0
	.set _Z20gated_delta_net_cudaILi128ELb1ELb0EEvPKfS1_S1_S1_S1_S1_Pfllllllllllll15HIP_vector_typeIjLj3EES4_fi.uses_vcc, 1
	.set _Z20gated_delta_net_cudaILi128ELb1ELb0EEvPKfS1_S1_S1_S1_S1_Pfllllllllllll15HIP_vector_typeIjLj3EES4_fi.uses_flat_scratch, 0
	.set _Z20gated_delta_net_cudaILi128ELb1ELb0EEvPKfS1_S1_S1_S1_S1_Pfllllllllllll15HIP_vector_typeIjLj3EES4_fi.has_dyn_sized_stack, 0
	.set _Z20gated_delta_net_cudaILi128ELb1ELb0EEvPKfS1_S1_S1_S1_S1_Pfllllllllllll15HIP_vector_typeIjLj3EES4_fi.has_recursion, 0
	.set _Z20gated_delta_net_cudaILi128ELb1ELb0EEvPKfS1_S1_S1_S1_S1_Pfllllllllllll15HIP_vector_typeIjLj3EES4_fi.has_indirect_call, 0
	.section	.AMDGPU.csdata,"",@progbits
; Kernel info:
; codeLenInByte = 1472
; TotalNumSgprs: 60
; NumVgprs: 31
; ScratchSize: 0
; MemoryBound: 0
; FloatMode: 240
; IeeeMode: 1
; LDSByteSize: 0 bytes/workgroup (compile time only)
; SGPRBlocks: 7
; VGPRBlocks: 7
; NumSGPRsForWavesPerEU: 60
; NumVGPRsForWavesPerEU: 31
; Occupancy: 8
; WaveLimiterHint : 1
; COMPUTE_PGM_RSRC2:SCRATCH_EN: 0
; COMPUTE_PGM_RSRC2:USER_SGPR: 6
; COMPUTE_PGM_RSRC2:TRAP_HANDLER: 0
; COMPUTE_PGM_RSRC2:TGID_X_EN: 1
; COMPUTE_PGM_RSRC2:TGID_Y_EN: 1
; COMPUTE_PGM_RSRC2:TGID_Z_EN: 1
; COMPUTE_PGM_RSRC2:TIDIG_COMP_CNT: 1
	.section	.text._Z20gated_delta_net_cudaILi16ELb0ELb1EEvPKfS1_S1_S1_S1_S1_Pfllllllllllll15HIP_vector_typeIjLj3EES4_fi,"axG",@progbits,_Z20gated_delta_net_cudaILi16ELb0ELb1EEvPKfS1_S1_S1_S1_S1_Pfllllllllllll15HIP_vector_typeIjLj3EES4_fi,comdat
	.protected	_Z20gated_delta_net_cudaILi16ELb0ELb1EEvPKfS1_S1_S1_S1_S1_Pfllllllllllll15HIP_vector_typeIjLj3EES4_fi ; -- Begin function _Z20gated_delta_net_cudaILi16ELb0ELb1EEvPKfS1_S1_S1_S1_S1_Pfllllllllllll15HIP_vector_typeIjLj3EES4_fi
	.globl	_Z20gated_delta_net_cudaILi16ELb0ELb1EEvPKfS1_S1_S1_S1_S1_Pfllllllllllll15HIP_vector_typeIjLj3EES4_fi
	.p2align	8
	.type	_Z20gated_delta_net_cudaILi16ELb0ELb1EEvPKfS1_S1_S1_S1_S1_Pfllllllllllll15HIP_vector_typeIjLj3EES4_fi,@function
_Z20gated_delta_net_cudaILi16ELb0ELb1EEvPKfS1_S1_S1_S1_S1_Pfllllllllllll15HIP_vector_typeIjLj3EES4_fi: ; @_Z20gated_delta_net_cudaILi16ELb0ELb1EEvPKfS1_S1_S1_S1_S1_Pfllllllllllll15HIP_vector_typeIjLj3EES4_fi
; %bb.0:
	s_load_dwordx16 s[12:27], s[4:5], 0x40
	s_waitcnt lgkmcnt(0)
	v_cmp_lt_i64_e64 s[0:1], s[12:13], 1
	s_and_b64 vcc, exec, s[0:1]
	s_cbranch_vccnz .LBB8_7
; %bb.1:
	s_load_dwordx16 s[36:51], s[4:5], 0x0
	s_load_dwordx4 s[0:3], s[4:5], 0x80
	s_load_dwordx2 s[30:31], s[4:5], 0x90
	s_mov_b32 s29, 0
	v_lshlrev_b32_e32 v12, 2, v0
	s_waitcnt lgkmcnt(0)
	s_mul_i32 s9, s50, s15
	s_mul_hi_u32 s10, s50, s14
	s_mul_i32 s11, s51, s14
	s_add_i32 s9, s10, s9
	s_add_i32 s15, s9, s11
	s_mul_i32 s9, s51, s7
	s_mul_hi_u32 s10, s50, s7
	s_add_i32 s35, s10, s9
	s_mul_i32 s34, s50, s7
	s_lshl_b64 s[10:11], s[34:35], 10
	s_add_u32 s9, s46, s10
	s_addc_u32 s33, s47, s11
	s_load_dwordx2 s[10:11], s[4:5], 0xb0
	s_load_dword s46, s[4:5], 0xc4
	s_lshl_b32 s28, s6, 8
	s_lshl_b64 s[28:29], s[28:29], 2
	s_add_u32 s9, s9, s28
	s_addc_u32 s28, s33, s29
	s_waitcnt lgkmcnt(0)
	s_lshr_b32 s29, s46, 16
	s_mul_i32 s8, s8, s29
	v_add_u32_e32 v1, s8, v1
	v_lshlrev_b32_e32 v3, 4, v1
	v_ashrrev_i32_e32 v4, 31, v3
	v_lshlrev_b64 v[4:5], 2, v[3:4]
	v_mov_b32_e32 v2, s28
	v_add_co_u32_e32 v4, vcc, s9, v4
	v_addc_co_u32_e32 v2, vcc, v2, v5, vcc
	v_add_co_u32_e32 v6, vcc, v4, v12
	v_addc_co_u32_e32 v7, vcc, 0, v2, vcc
	global_load_dword v6, v[6:7], off
	s_mul_i32 s9, s34, s13
	s_mul_hi_u32 s28, s34, s12
	s_mul_i32 s8, s35, s12
	s_add_i32 s9, s28, s9
	s_add_i32 s9, s9, s8
	s_mul_i32 s8, s34, s12
	s_add_u32 s8, s8, s6
	s_addc_u32 s9, s9, 0
	s_mul_i32 s14, s50, s14
	s_lshl_b64 s[28:29], s[8:9], 6
	s_load_dwordx4 s[52:55], s[4:5], 0x98
	s_add_u32 s8, s34, s6
	s_mul_i32 s33, s14, s13
	s_mul_hi_u32 s34, s14, s12
	s_addc_u32 s9, s35, 0
	s_add_i32 s33, s34, s33
	s_mul_i32 s34, s15, s12
	s_load_dword s4, s[4:5], 0xa8
	s_add_i32 s35, s33, s34
	s_mul_i32 s34, s14, s12
	s_lshl_b64 s[34:35], s[34:35], 6
	s_add_u32 s33, s48, s34
	s_waitcnt lgkmcnt(0)
	s_mul_hi_u32 s5, s55, s7
	s_addc_u32 s34, s49, s35
	s_add_i32 s5, s7, s5
	s_lshr_b32 s35, s5, s4
	s_mul_hi_u32 s4, s52, s6
	s_add_i32 s4, s6, s4
	v_mbcnt_lo_u32_b32 v2, -1, 0
	s_lshr_b32 s4, s4, s53
	v_mbcnt_hi_u32_b32 v2, -1, v2
	s_mul_i32 s4, s4, s54
	v_and_b32_e32 v4, 0x70, v2
	s_sub_i32 s46, s6, s4
	s_mul_i32 s4, s27, s7
	s_mul_hi_u32 s5, s26, s7
	v_add_u32_e32 v4, 16, v4
	v_xor_b32_e32 v7, 8, v2
	s_add_i32 s5, s5, s4
	s_mul_i32 s4, s26, s7
	v_cmp_lt_i32_e32 vcc, v7, v4
	v_xor_b32_e32 v8, 4, v2
	s_lshl_b64 s[4:5], s[4:5], 2
	v_cndmask_b32_e32 v7, v2, v7, vcc
	v_cmp_lt_i32_e32 vcc, v8, v4
	v_xor_b32_e32 v9, 2, v2
	s_add_u32 s26, s40, s4
	v_cndmask_b32_e32 v8, v2, v8, vcc
	v_cmp_lt_i32_e32 vcc, v9, v4
	v_xor_b32_e32 v10, 1, v2
	s_addc_u32 s27, s41, s5
	s_mul_i32 s4, s23, s6
	s_mul_hi_u32 s5, s22, s6
	v_cndmask_b32_e32 v9, v2, v9, vcc
	v_cmp_lt_i32_e32 vcc, v10, v4
	s_add_i32 s5, s5, s4
	s_mul_i32 s4, s22, s6
	v_cndmask_b32_e32 v2, v2, v10, vcc
	s_lshl_b64 s[4:5], s[4:5], 2
	v_lshlrev_b32_e32 v10, 2, v2
	v_ashrrev_i32_e32 v2, 31, v1
	s_add_u32 s4, s26, s4
	v_lshlrev_b64 v[14:15], 2, v[1:2]
	s_addc_u32 s5, s27, s5
	s_mul_i32 s22, s31, s7
	s_mul_hi_u32 s23, s30, s7
	s_mul_i32 s26, s30, s7
	s_mul_i32 s1, s1, s6
	s_mul_hi_u32 s7, s0, s6
	v_add_u32_e32 v3, v3, v0
	s_add_i32 s23, s23, s22
	s_add_i32 s27, s7, s1
	s_mul_i32 s30, s0, s6
	v_mov_b32_e32 v2, s5
	v_add_co_u32_e32 v1, vcc, s4, v14
	s_lshl_b64 s[4:5], s[14:15], 8
	s_lshl_b64 s[6:7], s[8:9], 10
	v_ashrrev_i32_e32 v4, 31, v3
	s_add_u32 s6, s33, s6
	v_lshlrev_b64 v[3:4], 2, v[3:4]
	v_addc_co_u32_e32 v2, vcc, v2, v15, vcc
	s_addc_u32 s7, s34, s7
	v_cmp_eq_u32_e64 s[0:1], 0, v0
	v_mov_b32_e32 v11, s7
	v_add_co_u32_e32 v0, vcc, s6, v3
	s_mul_i32 s6, s21, s35
	s_mul_hi_u32 s7, s20, s35
	s_mul_i32 s8, s17, s46
	s_mul_hi_u32 s9, s16, s46
	s_add_i32 s7, s7, s6
	s_mul_i32 s6, s20, s35
	s_add_i32 s9, s9, s8
	s_mul_i32 s8, s16, s46
	s_add_i32 s22, s12, -1
	s_lshl_b64 s[6:7], s[6:7], 2
	s_lshl_b64 s[8:9], s[8:9], 2
	s_add_u32 s6, s6, s8
	v_addc_co_u32_e32 v11, vcc, v11, v4, vcc
	s_addc_u32 s7, s7, s9
	v_mov_b32_e32 v3, s7
	v_add_co_u32_e32 v12, vcc, s6, v12
	s_lshl_b64 s[6:7], s[18:19], 2
	s_lshl_b64 s[8:9], s[24:25], 2
	s_add_u32 s14, s26, s30
	s_addc_u32 s15, s23, s27
	s_lshl_b64 s[14:15], s[14:15], 2
	s_lshl_b64 s[16:17], s[2:3], 2
	s_add_u32 s2, s48, s28
	v_addc_co_u32_e32 v13, vcc, 0, v3, vcc
	s_addc_u32 s3, s49, s29
	v_mov_b32_e32 v4, s3
	v_add_co_u32_e32 v3, vcc, s2, v14
	v_mov_b32_e32 v5, 0
	v_lshlrev_b32_e32 v7, 2, v7
	v_lshlrev_b32_e32 v8, 2, v8
	;; [unrolled: 1-line block ×3, first 2 shown]
	v_addc_co_u32_e32 v4, vcc, v4, v15, vcc
	s_lshl_b64 s[18:19], s[50:51], 6
	s_mov_b64 s[20:21], 0
	s_mov_b32 s23, 0x3fb8aa3b
	s_mov_b32 s24, 0xc2ce8ed0
	s_mov_b32 s25, 0x42b17218
	v_mov_b32_e32 v14, 0x7f800000
	s_branch .LBB8_3
.LBB8_2:                                ;   in Loop: Header=BB8_3 Depth=1
	v_mov_b32_e32 v15, s7
	v_add_co_u32_e32 v12, vcc, s6, v12
	v_addc_co_u32_e32 v13, vcc, v13, v15, vcc
	s_add_u32 s20, s20, 1
	v_mov_b32_e32 v15, s9
	v_add_co_u32_e32 v1, vcc, s8, v1
	s_addc_u32 s21, s21, 0
	v_addc_co_u32_e32 v2, vcc, v2, v15, vcc
	s_waitcnt lgkmcnt(0)
	v_mov_b32_e32 v15, s20
	v_mov_b32_e32 v16, s21
	s_add_i32 s22, s22, -1
	v_cmp_le_i64_e32 vcc, s[12:13], v[15:16]
	s_add_u32 s14, s14, s16
	v_mov_b32_e32 v17, s19
	v_add_co_u32_e64 v3, s[2:3], s18, v3
	s_addc_u32 s15, s15, s17
	v_addc_co_u32_e64 v4, s[2:3], v4, v17, s[2:3]
	s_cbranch_vccnz .LBB8_7
.LBB8_3:                                ; =>This Inner Loop Header: Depth=1
	s_add_u32 s2, s44, s14
	s_addc_u32 s3, s45, s15
	v_mov_b32_e32 v16, s39
	v_add_co_u32_e32 v15, vcc, s38, v12
	s_add_u32 s26, s42, s14
	v_addc_co_u32_e32 v16, vcc, v16, v13, vcc
	s_addc_u32 s27, s43, s15
	global_load_dword v17, v[15:16], off
	global_load_dword v18, v5, s[26:27]
	global_load_dword v19, v5, s[2:3]
	global_load_dword v20, v[1:2], off
	v_mov_b32_e32 v16, s37
	v_add_co_u32_e32 v15, vcc, s36, v12
	v_addc_co_u32_e32 v16, vcc, v16, v13, vcc
	global_load_dword v15, v[15:16], off
	s_waitcnt vmcnt(4)
	v_fma_f32 v16, v6, v17, 0
	s_waitcnt vmcnt(3)
	v_mul_f32_e32 v21, 0x3fb8aa3b, v18
	v_fma_f32 v22, v18, s23, -v21
	v_rndne_f32_e32 v23, v21
	v_fmac_f32_e32 v22, 0x32a5705f, v18
	v_sub_f32_e32 v21, v21, v23
	v_add_f32_e32 v21, v21, v22
	ds_bpermute_b32 v22, v7, v16
	v_cvt_i32_f32_e32 v23, v23
	v_exp_f32_e32 v21, v21
	v_cmp_ngt_f32_e32 vcc, s24, v18
	s_waitcnt lgkmcnt(0)
	v_add_f32_e32 v16, v16, v22
	ds_bpermute_b32 v22, v8, v16
	v_ldexp_f32 v21, v21, v23
	v_cndmask_b32_e32 v21, 0, v21, vcc
	v_cmp_nlt_f32_e32 vcc, s25, v18
	v_cndmask_b32_e32 v18, v14, v21, vcc
	s_waitcnt lgkmcnt(0)
	v_add_f32_e32 v16, v16, v22
	ds_bpermute_b32 v22, v9, v16
	v_mul_f32_e32 v6, v18, v6
	s_waitcnt lgkmcnt(0)
	v_add_f32_e32 v16, v16, v22
	ds_bpermute_b32 v22, v10, v16
	s_waitcnt lgkmcnt(0)
	v_add_f32_e32 v16, v16, v22
	s_waitcnt vmcnt(1)
	v_fma_f32 v16, -v18, v16, v20
	v_mul_f32_e32 v16, v19, v16
	v_fmac_f32_e32 v6, v17, v16
	s_waitcnt vmcnt(0)
	v_fma_f32 v15, v15, v6, 0
	ds_bpermute_b32 v16, v7, v15
	s_waitcnt lgkmcnt(0)
	v_add_f32_e32 v15, v15, v16
	ds_bpermute_b32 v16, v8, v15
	s_waitcnt lgkmcnt(0)
	v_add_f32_e32 v15, v15, v16
	;; [unrolled: 3-line block ×3, first 2 shown]
	ds_bpermute_b32 v16, v10, v15
	s_and_saveexec_b64 s[2:3], s[0:1]
	s_cbranch_execz .LBB8_5
; %bb.4:                                ;   in Loop: Header=BB8_3 Depth=1
	s_waitcnt lgkmcnt(0)
	v_add_f32_e32 v15, v15, v16
	v_mul_f32_e32 v15, s10, v15
	global_store_dword v[3:4], v15, off
.LBB8_5:                                ;   in Loop: Header=BB8_3 Depth=1
	s_or_b64 exec, exec, s[2:3]
	s_cmp_lt_i32 s22, 0
	s_cselect_b64 s[2:3], -1, 0
	s_cmp_ge_i32 s22, s11
	s_cselect_b64 s[26:27], -1, 0
	s_or_b64 s[2:3], s[2:3], s[26:27]
	s_and_b64 vcc, exec, s[2:3]
	s_cbranch_vccnz .LBB8_2
; %bb.6:                                ;   in Loop: Header=BB8_3 Depth=1
	s_mul_i32 s2, s5, s22
	s_mul_hi_u32 s3, s4, s22
	s_add_i32 s3, s3, s2
	s_mul_i32 s2, s4, s22
	s_lshl_b64 s[2:3], s[2:3], 2
	s_waitcnt lgkmcnt(0)
	v_mov_b32_e32 v16, s3
	v_add_co_u32_e32 v15, vcc, s2, v0
	v_addc_co_u32_e32 v16, vcc, v11, v16, vcc
	global_store_dword v[15:16], v6, off
	s_branch .LBB8_2
.LBB8_7:
	s_endpgm
	.section	.rodata,"a",@progbits
	.p2align	6, 0x0
	.amdhsa_kernel _Z20gated_delta_net_cudaILi16ELb0ELb1EEvPKfS1_S1_S1_S1_S1_Pfllllllllllll15HIP_vector_typeIjLj3EES4_fi
		.amdhsa_group_segment_fixed_size 0
		.amdhsa_private_segment_fixed_size 0
		.amdhsa_kernarg_size 440
		.amdhsa_user_sgpr_count 6
		.amdhsa_user_sgpr_private_segment_buffer 1
		.amdhsa_user_sgpr_dispatch_ptr 0
		.amdhsa_user_sgpr_queue_ptr 0
		.amdhsa_user_sgpr_kernarg_segment_ptr 1
		.amdhsa_user_sgpr_dispatch_id 0
		.amdhsa_user_sgpr_flat_scratch_init 0
		.amdhsa_user_sgpr_private_segment_size 0
		.amdhsa_uses_dynamic_stack 0
		.amdhsa_system_sgpr_private_segment_wavefront_offset 0
		.amdhsa_system_sgpr_workgroup_id_x 1
		.amdhsa_system_sgpr_workgroup_id_y 1
		.amdhsa_system_sgpr_workgroup_id_z 1
		.amdhsa_system_sgpr_workgroup_info 0
		.amdhsa_system_vgpr_workitem_id 1
		.amdhsa_next_free_vgpr 24
		.amdhsa_next_free_sgpr 56
		.amdhsa_reserve_vcc 1
		.amdhsa_reserve_flat_scratch 0
		.amdhsa_float_round_mode_32 0
		.amdhsa_float_round_mode_16_64 0
		.amdhsa_float_denorm_mode_32 3
		.amdhsa_float_denorm_mode_16_64 3
		.amdhsa_dx10_clamp 1
		.amdhsa_ieee_mode 1
		.amdhsa_fp16_overflow 0
		.amdhsa_exception_fp_ieee_invalid_op 0
		.amdhsa_exception_fp_denorm_src 0
		.amdhsa_exception_fp_ieee_div_zero 0
		.amdhsa_exception_fp_ieee_overflow 0
		.amdhsa_exception_fp_ieee_underflow 0
		.amdhsa_exception_fp_ieee_inexact 0
		.amdhsa_exception_int_div_zero 0
	.end_amdhsa_kernel
	.section	.text._Z20gated_delta_net_cudaILi16ELb0ELb1EEvPKfS1_S1_S1_S1_S1_Pfllllllllllll15HIP_vector_typeIjLj3EES4_fi,"axG",@progbits,_Z20gated_delta_net_cudaILi16ELb0ELb1EEvPKfS1_S1_S1_S1_S1_Pfllllllllllll15HIP_vector_typeIjLj3EES4_fi,comdat
.Lfunc_end8:
	.size	_Z20gated_delta_net_cudaILi16ELb0ELb1EEvPKfS1_S1_S1_S1_S1_Pfllllllllllll15HIP_vector_typeIjLj3EES4_fi, .Lfunc_end8-_Z20gated_delta_net_cudaILi16ELb0ELb1EEvPKfS1_S1_S1_S1_S1_Pfllllllllllll15HIP_vector_typeIjLj3EES4_fi
                                        ; -- End function
	.set _Z20gated_delta_net_cudaILi16ELb0ELb1EEvPKfS1_S1_S1_S1_S1_Pfllllllllllll15HIP_vector_typeIjLj3EES4_fi.num_vgpr, 24
	.set _Z20gated_delta_net_cudaILi16ELb0ELb1EEvPKfS1_S1_S1_S1_S1_Pfllllllllllll15HIP_vector_typeIjLj3EES4_fi.num_agpr, 0
	.set _Z20gated_delta_net_cudaILi16ELb0ELb1EEvPKfS1_S1_S1_S1_S1_Pfllllllllllll15HIP_vector_typeIjLj3EES4_fi.numbered_sgpr, 56
	.set _Z20gated_delta_net_cudaILi16ELb0ELb1EEvPKfS1_S1_S1_S1_S1_Pfllllllllllll15HIP_vector_typeIjLj3EES4_fi.num_named_barrier, 0
	.set _Z20gated_delta_net_cudaILi16ELb0ELb1EEvPKfS1_S1_S1_S1_S1_Pfllllllllllll15HIP_vector_typeIjLj3EES4_fi.private_seg_size, 0
	.set _Z20gated_delta_net_cudaILi16ELb0ELb1EEvPKfS1_S1_S1_S1_S1_Pfllllllllllll15HIP_vector_typeIjLj3EES4_fi.uses_vcc, 1
	.set _Z20gated_delta_net_cudaILi16ELb0ELb1EEvPKfS1_S1_S1_S1_S1_Pfllllllllllll15HIP_vector_typeIjLj3EES4_fi.uses_flat_scratch, 0
	.set _Z20gated_delta_net_cudaILi16ELb0ELb1EEvPKfS1_S1_S1_S1_S1_Pfllllllllllll15HIP_vector_typeIjLj3EES4_fi.has_dyn_sized_stack, 0
	.set _Z20gated_delta_net_cudaILi16ELb0ELb1EEvPKfS1_S1_S1_S1_S1_Pfllllllllllll15HIP_vector_typeIjLj3EES4_fi.has_recursion, 0
	.set _Z20gated_delta_net_cudaILi16ELb0ELb1EEvPKfS1_S1_S1_S1_S1_Pfllllllllllll15HIP_vector_typeIjLj3EES4_fi.has_indirect_call, 0
	.section	.AMDGPU.csdata,"",@progbits
; Kernel info:
; codeLenInByte = 1268
; TotalNumSgprs: 60
; NumVgprs: 24
; ScratchSize: 0
; MemoryBound: 0
; FloatMode: 240
; IeeeMode: 1
; LDSByteSize: 0 bytes/workgroup (compile time only)
; SGPRBlocks: 7
; VGPRBlocks: 5
; NumSGPRsForWavesPerEU: 60
; NumVGPRsForWavesPerEU: 24
; Occupancy: 10
; WaveLimiterHint : 1
; COMPUTE_PGM_RSRC2:SCRATCH_EN: 0
; COMPUTE_PGM_RSRC2:USER_SGPR: 6
; COMPUTE_PGM_RSRC2:TRAP_HANDLER: 0
; COMPUTE_PGM_RSRC2:TGID_X_EN: 1
; COMPUTE_PGM_RSRC2:TGID_Y_EN: 1
; COMPUTE_PGM_RSRC2:TGID_Z_EN: 1
; COMPUTE_PGM_RSRC2:TIDIG_COMP_CNT: 1
	.section	.text._Z20gated_delta_net_cudaILi32ELb0ELb1EEvPKfS1_S1_S1_S1_S1_Pfllllllllllll15HIP_vector_typeIjLj3EES4_fi,"axG",@progbits,_Z20gated_delta_net_cudaILi32ELb0ELb1EEvPKfS1_S1_S1_S1_S1_Pfllllllllllll15HIP_vector_typeIjLj3EES4_fi,comdat
	.protected	_Z20gated_delta_net_cudaILi32ELb0ELb1EEvPKfS1_S1_S1_S1_S1_Pfllllllllllll15HIP_vector_typeIjLj3EES4_fi ; -- Begin function _Z20gated_delta_net_cudaILi32ELb0ELb1EEvPKfS1_S1_S1_S1_S1_Pfllllllllllll15HIP_vector_typeIjLj3EES4_fi
	.globl	_Z20gated_delta_net_cudaILi32ELb0ELb1EEvPKfS1_S1_S1_S1_S1_Pfllllllllllll15HIP_vector_typeIjLj3EES4_fi
	.p2align	8
	.type	_Z20gated_delta_net_cudaILi32ELb0ELb1EEvPKfS1_S1_S1_S1_S1_Pfllllllllllll15HIP_vector_typeIjLj3EES4_fi,@function
_Z20gated_delta_net_cudaILi32ELb0ELb1EEvPKfS1_S1_S1_S1_S1_Pfllllllllllll15HIP_vector_typeIjLj3EES4_fi: ; @_Z20gated_delta_net_cudaILi32ELb0ELb1EEvPKfS1_S1_S1_S1_S1_Pfllllllllllll15HIP_vector_typeIjLj3EES4_fi
; %bb.0:
	s_load_dwordx16 s[12:27], s[4:5], 0x40
	s_waitcnt lgkmcnt(0)
	v_cmp_lt_i64_e64 s[0:1], s[12:13], 1
	s_and_b64 vcc, exec, s[0:1]
	s_cbranch_vccnz .LBB9_7
; %bb.1:
	s_load_dwordx16 s[36:51], s[4:5], 0x0
	s_load_dwordx4 s[0:3], s[4:5], 0x80
	s_load_dwordx2 s[30:31], s[4:5], 0x90
	s_mov_b32 s29, 0
	v_lshlrev_b32_e32 v13, 2, v0
	s_waitcnt lgkmcnt(0)
	s_mul_i32 s9, s50, s15
	s_mul_hi_u32 s10, s50, s14
	s_mul_i32 s11, s51, s14
	s_add_i32 s9, s10, s9
	s_add_i32 s15, s9, s11
	s_mul_i32 s9, s51, s7
	s_mul_hi_u32 s10, s50, s7
	s_add_i32 s35, s10, s9
	s_mul_i32 s34, s50, s7
	s_lshl_b64 s[10:11], s[34:35], 12
	s_add_u32 s9, s46, s10
	s_addc_u32 s33, s47, s11
	s_load_dwordx2 s[10:11], s[4:5], 0xb0
	s_load_dword s46, s[4:5], 0xc4
	s_lshl_b32 s28, s6, 10
	s_lshl_b64 s[28:29], s[28:29], 2
	s_add_u32 s9, s9, s28
	s_addc_u32 s28, s33, s29
	s_waitcnt lgkmcnt(0)
	s_lshr_b32 s29, s46, 16
	s_mul_i32 s8, s8, s29
	v_add_u32_e32 v1, s8, v1
	v_lshlrev_b32_e32 v3, 5, v1
	v_ashrrev_i32_e32 v4, 31, v3
	v_lshlrev_b64 v[4:5], 2, v[3:4]
	v_mov_b32_e32 v2, s28
	v_add_co_u32_e32 v4, vcc, s9, v4
	v_addc_co_u32_e32 v2, vcc, v2, v5, vcc
	v_add_co_u32_e32 v6, vcc, v4, v13
	v_addc_co_u32_e32 v7, vcc, 0, v2, vcc
	global_load_dword v6, v[6:7], off
	s_mul_i32 s9, s34, s13
	s_mul_hi_u32 s28, s34, s12
	s_mul_i32 s8, s35, s12
	s_add_i32 s9, s28, s9
	s_add_i32 s9, s9, s8
	s_mul_i32 s8, s34, s12
	s_add_u32 s8, s8, s6
	s_addc_u32 s9, s9, 0
	s_mul_i32 s14, s50, s14
	s_lshl_b64 s[28:29], s[8:9], 7
	s_load_dwordx4 s[52:55], s[4:5], 0x98
	s_add_u32 s8, s34, s6
	s_mul_i32 s33, s14, s13
	s_mul_hi_u32 s34, s14, s12
	s_addc_u32 s9, s35, 0
	s_add_i32 s33, s34, s33
	s_mul_i32 s34, s15, s12
	s_load_dword s4, s[4:5], 0xa8
	s_add_i32 s35, s33, s34
	s_mul_i32 s34, s14, s12
	s_lshl_b64 s[34:35], s[34:35], 7
	s_add_u32 s33, s48, s34
	s_waitcnt lgkmcnt(0)
	s_mul_hi_u32 s5, s55, s7
	s_addc_u32 s34, s49, s35
	s_add_i32 s5, s7, s5
	s_lshr_b32 s35, s5, s4
	s_mul_hi_u32 s4, s52, s6
	v_mbcnt_lo_u32_b32 v2, -1, 0
	s_add_i32 s4, s6, s4
	v_mbcnt_hi_u32_b32 v2, -1, v2
	s_lshr_b32 s4, s4, s53
	v_and_b32_e32 v4, 0x60, v2
	s_mul_i32 s4, s4, s54
	v_add_u32_e32 v4, 32, v4
	v_xor_b32_e32 v7, 16, v2
	s_sub_i32 s46, s6, s4
	s_mul_i32 s4, s27, s7
	s_mul_hi_u32 s5, s26, s7
	v_cmp_lt_i32_e32 vcc, v7, v4
	v_xor_b32_e32 v8, 8, v2
	s_add_i32 s5, s5, s4
	s_mul_i32 s4, s26, s7
	v_cndmask_b32_e32 v7, v2, v7, vcc
	v_cmp_lt_i32_e32 vcc, v8, v4
	v_xor_b32_e32 v9, 4, v2
	s_lshl_b64 s[4:5], s[4:5], 2
	v_cndmask_b32_e32 v8, v2, v8, vcc
	v_cmp_lt_i32_e32 vcc, v9, v4
	v_xor_b32_e32 v10, 2, v2
	s_add_u32 s26, s40, s4
	v_cndmask_b32_e32 v9, v2, v9, vcc
	v_cmp_lt_i32_e32 vcc, v10, v4
	v_xor_b32_e32 v11, 1, v2
	s_addc_u32 s27, s41, s5
	s_mul_i32 s4, s23, s6
	s_mul_hi_u32 s5, s22, s6
	v_cndmask_b32_e32 v10, v2, v10, vcc
	v_cmp_lt_i32_e32 vcc, v11, v4
	s_add_i32 s5, s5, s4
	s_mul_i32 s4, s22, s6
	v_cndmask_b32_e32 v2, v2, v11, vcc
	s_lshl_b64 s[4:5], s[4:5], 2
	v_lshlrev_b32_e32 v11, 2, v2
	v_ashrrev_i32_e32 v2, 31, v1
	s_add_u32 s4, s26, s4
	v_lshlrev_b64 v[15:16], 2, v[1:2]
	s_addc_u32 s5, s27, s5
	s_mul_i32 s22, s31, s7
	s_mul_hi_u32 s23, s30, s7
	s_mul_i32 s26, s30, s7
	s_mul_i32 s1, s1, s6
	s_mul_hi_u32 s7, s0, s6
	v_add_u32_e32 v3, v3, v0
	s_add_i32 s23, s23, s22
	s_add_i32 s27, s7, s1
	s_mul_i32 s30, s0, s6
	v_mov_b32_e32 v2, s5
	v_add_co_u32_e32 v1, vcc, s4, v15
	s_lshl_b64 s[4:5], s[14:15], 10
	s_lshl_b64 s[6:7], s[8:9], 12
	v_ashrrev_i32_e32 v4, 31, v3
	s_add_u32 s6, s33, s6
	v_lshlrev_b64 v[3:4], 2, v[3:4]
	v_addc_co_u32_e32 v2, vcc, v2, v16, vcc
	s_addc_u32 s7, s34, s7
	v_cmp_eq_u32_e64 s[0:1], 0, v0
	v_mov_b32_e32 v12, s7
	v_add_co_u32_e32 v0, vcc, s6, v3
	s_mul_i32 s6, s21, s35
	s_mul_hi_u32 s7, s20, s35
	s_mul_i32 s8, s17, s46
	s_mul_hi_u32 s9, s16, s46
	s_add_i32 s7, s7, s6
	s_mul_i32 s6, s20, s35
	s_add_i32 s9, s9, s8
	s_mul_i32 s8, s16, s46
	s_add_i32 s22, s12, -1
	s_lshl_b64 s[6:7], s[6:7], 2
	s_lshl_b64 s[8:9], s[8:9], 2
	s_add_u32 s6, s6, s8
	v_addc_co_u32_e32 v12, vcc, v12, v4, vcc
	s_addc_u32 s7, s7, s9
	v_mov_b32_e32 v3, s7
	v_add_co_u32_e32 v13, vcc, s6, v13
	s_lshl_b64 s[6:7], s[18:19], 2
	s_lshl_b64 s[8:9], s[24:25], 2
	s_add_u32 s14, s26, s30
	s_addc_u32 s15, s23, s27
	s_lshl_b64 s[14:15], s[14:15], 2
	s_lshl_b64 s[16:17], s[2:3], 2
	s_add_u32 s2, s48, s28
	v_addc_co_u32_e32 v14, vcc, 0, v3, vcc
	s_addc_u32 s3, s49, s29
	v_mov_b32_e32 v4, s3
	v_add_co_u32_e32 v3, vcc, s2, v15
	v_mov_b32_e32 v5, 0
	v_lshlrev_b32_e32 v7, 2, v7
	v_lshlrev_b32_e32 v8, 2, v8
	;; [unrolled: 1-line block ×4, first 2 shown]
	v_addc_co_u32_e32 v4, vcc, v4, v16, vcc
	s_lshl_b64 s[18:19], s[50:51], 7
	s_mov_b64 s[20:21], 0
	s_mov_b32 s23, 0x3fb8aa3b
	s_mov_b32 s24, 0xc2ce8ed0
	s_mov_b32 s25, 0x42b17218
	v_mov_b32_e32 v15, 0x7f800000
	s_branch .LBB9_3
.LBB9_2:                                ;   in Loop: Header=BB9_3 Depth=1
	v_mov_b32_e32 v16, s7
	v_add_co_u32_e32 v13, vcc, s6, v13
	v_addc_co_u32_e32 v14, vcc, v14, v16, vcc
	s_add_u32 s20, s20, 1
	v_mov_b32_e32 v16, s9
	v_add_co_u32_e32 v1, vcc, s8, v1
	s_addc_u32 s21, s21, 0
	v_addc_co_u32_e32 v2, vcc, v2, v16, vcc
	s_waitcnt lgkmcnt(0)
	v_mov_b32_e32 v16, s20
	v_mov_b32_e32 v17, s21
	s_add_i32 s22, s22, -1
	v_cmp_le_i64_e32 vcc, s[12:13], v[16:17]
	s_add_u32 s14, s14, s16
	v_mov_b32_e32 v18, s19
	v_add_co_u32_e64 v3, s[2:3], s18, v3
	s_addc_u32 s15, s15, s17
	v_addc_co_u32_e64 v4, s[2:3], v4, v18, s[2:3]
	s_cbranch_vccnz .LBB9_7
.LBB9_3:                                ; =>This Inner Loop Header: Depth=1
	s_add_u32 s26, s44, s14
	s_addc_u32 s27, s45, s15
	v_mov_b32_e32 v17, s39
	v_add_co_u32_e32 v16, vcc, s38, v13
	s_add_u32 s2, s42, s14
	v_addc_co_u32_e32 v17, vcc, v17, v14, vcc
	s_addc_u32 s3, s43, s15
	global_load_dword v16, v[16:17], off
	s_nop 0
	global_load_dword v17, v5, s[2:3]
	s_waitcnt vmcnt(0)
	v_mul_f32_e32 v18, 0x3fb8aa3b, v17
	v_fma_f32 v19, v17, s23, -v18
	v_cmp_ngt_f32_e32 vcc, s24, v17
	v_cmp_nlt_f32_e64 s[2:3], s25, v17
	v_fmac_f32_e32 v19, 0x32a5705f, v17
	v_rndne_f32_e32 v17, v18
	v_sub_f32_e32 v18, v18, v17
	v_add_f32_e32 v18, v18, v19
	v_fma_f32 v19, v6, v16, 0
	ds_bpermute_b32 v20, v7, v19
	v_cvt_i32_f32_e32 v17, v17
	v_exp_f32_e32 v18, v18
	s_waitcnt lgkmcnt(0)
	v_add_f32_e32 v19, v19, v20
	v_ldexp_f32 v17, v18, v17
	ds_bpermute_b32 v18, v8, v19
	v_cndmask_b32_e32 v17, 0, v17, vcc
	v_cndmask_b32_e64 v17, v15, v17, s[2:3]
	v_mul_f32_e32 v6, v17, v6
	s_waitcnt lgkmcnt(0)
	v_add_f32_e32 v18, v19, v18
	ds_bpermute_b32 v19, v9, v18
	s_waitcnt lgkmcnt(0)
	v_add_f32_e32 v18, v18, v19
	ds_bpermute_b32 v19, v10, v18
	;; [unrolled: 3-line block ×3, first 2 shown]
	s_waitcnt lgkmcnt(0)
	v_add_f32_e32 v18, v18, v19
	global_load_dword v19, v[1:2], off
	s_waitcnt vmcnt(0)
	v_fma_f32 v18, -v17, v18, v19
	global_load_dword v17, v5, s[26:27]
	s_waitcnt vmcnt(0)
	v_mul_f32_e32 v17, v17, v18
	v_fmac_f32_e32 v6, v16, v17
	v_mov_b32_e32 v17, s37
	v_add_co_u32_e32 v16, vcc, s36, v13
	v_addc_co_u32_e32 v17, vcc, v17, v14, vcc
	global_load_dword v16, v[16:17], off
	s_waitcnt vmcnt(0)
	v_fma_f32 v16, v16, v6, 0
	ds_bpermute_b32 v17, v7, v16
	s_waitcnt lgkmcnt(0)
	v_add_f32_e32 v16, v16, v17
	ds_bpermute_b32 v17, v8, v16
	s_waitcnt lgkmcnt(0)
	v_add_f32_e32 v16, v16, v17
	;; [unrolled: 3-line block ×4, first 2 shown]
	ds_bpermute_b32 v17, v11, v16
	s_and_saveexec_b64 s[2:3], s[0:1]
	s_cbranch_execz .LBB9_5
; %bb.4:                                ;   in Loop: Header=BB9_3 Depth=1
	s_waitcnt lgkmcnt(0)
	v_add_f32_e32 v16, v16, v17
	v_mul_f32_e32 v16, s10, v16
	global_store_dword v[3:4], v16, off
.LBB9_5:                                ;   in Loop: Header=BB9_3 Depth=1
	s_or_b64 exec, exec, s[2:3]
	s_cmp_lt_i32 s22, 0
	s_cselect_b64 s[2:3], -1, 0
	s_cmp_ge_i32 s22, s11
	s_cselect_b64 s[26:27], -1, 0
	s_or_b64 s[2:3], s[2:3], s[26:27]
	s_and_b64 vcc, exec, s[2:3]
	s_cbranch_vccnz .LBB9_2
; %bb.6:                                ;   in Loop: Header=BB9_3 Depth=1
	s_mul_i32 s2, s5, s22
	s_mul_hi_u32 s3, s4, s22
	s_add_i32 s3, s3, s2
	s_mul_i32 s2, s4, s22
	s_lshl_b64 s[2:3], s[2:3], 2
	s_waitcnt lgkmcnt(0)
	v_mov_b32_e32 v17, s3
	v_add_co_u32_e32 v16, vcc, s2, v0
	v_addc_co_u32_e32 v17, vcc, v12, v17, vcc
	global_store_dword v[16:17], v6, off
	s_branch .LBB9_2
.LBB9_7:
	s_endpgm
	.section	.rodata,"a",@progbits
	.p2align	6, 0x0
	.amdhsa_kernel _Z20gated_delta_net_cudaILi32ELb0ELb1EEvPKfS1_S1_S1_S1_S1_Pfllllllllllll15HIP_vector_typeIjLj3EES4_fi
		.amdhsa_group_segment_fixed_size 0
		.amdhsa_private_segment_fixed_size 0
		.amdhsa_kernarg_size 440
		.amdhsa_user_sgpr_count 6
		.amdhsa_user_sgpr_private_segment_buffer 1
		.amdhsa_user_sgpr_dispatch_ptr 0
		.amdhsa_user_sgpr_queue_ptr 0
		.amdhsa_user_sgpr_kernarg_segment_ptr 1
		.amdhsa_user_sgpr_dispatch_id 0
		.amdhsa_user_sgpr_flat_scratch_init 0
		.amdhsa_user_sgpr_private_segment_size 0
		.amdhsa_uses_dynamic_stack 0
		.amdhsa_system_sgpr_private_segment_wavefront_offset 0
		.amdhsa_system_sgpr_workgroup_id_x 1
		.amdhsa_system_sgpr_workgroup_id_y 1
		.amdhsa_system_sgpr_workgroup_id_z 1
		.amdhsa_system_sgpr_workgroup_info 0
		.amdhsa_system_vgpr_workitem_id 1
		.amdhsa_next_free_vgpr 21
		.amdhsa_next_free_sgpr 56
		.amdhsa_reserve_vcc 1
		.amdhsa_reserve_flat_scratch 0
		.amdhsa_float_round_mode_32 0
		.amdhsa_float_round_mode_16_64 0
		.amdhsa_float_denorm_mode_32 3
		.amdhsa_float_denorm_mode_16_64 3
		.amdhsa_dx10_clamp 1
		.amdhsa_ieee_mode 1
		.amdhsa_fp16_overflow 0
		.amdhsa_exception_fp_ieee_invalid_op 0
		.amdhsa_exception_fp_denorm_src 0
		.amdhsa_exception_fp_ieee_div_zero 0
		.amdhsa_exception_fp_ieee_overflow 0
		.amdhsa_exception_fp_ieee_underflow 0
		.amdhsa_exception_fp_ieee_inexact 0
		.amdhsa_exception_int_div_zero 0
	.end_amdhsa_kernel
	.section	.text._Z20gated_delta_net_cudaILi32ELb0ELb1EEvPKfS1_S1_S1_S1_S1_Pfllllllllllll15HIP_vector_typeIjLj3EES4_fi,"axG",@progbits,_Z20gated_delta_net_cudaILi32ELb0ELb1EEvPKfS1_S1_S1_S1_S1_Pfllllllllllll15HIP_vector_typeIjLj3EES4_fi,comdat
.Lfunc_end9:
	.size	_Z20gated_delta_net_cudaILi32ELb0ELb1EEvPKfS1_S1_S1_S1_S1_Pfllllllllllll15HIP_vector_typeIjLj3EES4_fi, .Lfunc_end9-_Z20gated_delta_net_cudaILi32ELb0ELb1EEvPKfS1_S1_S1_S1_S1_Pfllllllllllll15HIP_vector_typeIjLj3EES4_fi
                                        ; -- End function
	.set _Z20gated_delta_net_cudaILi32ELb0ELb1EEvPKfS1_S1_S1_S1_S1_Pfllllllllllll15HIP_vector_typeIjLj3EES4_fi.num_vgpr, 21
	.set _Z20gated_delta_net_cudaILi32ELb0ELb1EEvPKfS1_S1_S1_S1_S1_Pfllllllllllll15HIP_vector_typeIjLj3EES4_fi.num_agpr, 0
	.set _Z20gated_delta_net_cudaILi32ELb0ELb1EEvPKfS1_S1_S1_S1_S1_Pfllllllllllll15HIP_vector_typeIjLj3EES4_fi.numbered_sgpr, 56
	.set _Z20gated_delta_net_cudaILi32ELb0ELb1EEvPKfS1_S1_S1_S1_S1_Pfllllllllllll15HIP_vector_typeIjLj3EES4_fi.num_named_barrier, 0
	.set _Z20gated_delta_net_cudaILi32ELb0ELb1EEvPKfS1_S1_S1_S1_S1_Pfllllllllllll15HIP_vector_typeIjLj3EES4_fi.private_seg_size, 0
	.set _Z20gated_delta_net_cudaILi32ELb0ELb1EEvPKfS1_S1_S1_S1_S1_Pfllllllllllll15HIP_vector_typeIjLj3EES4_fi.uses_vcc, 1
	.set _Z20gated_delta_net_cudaILi32ELb0ELb1EEvPKfS1_S1_S1_S1_S1_Pfllllllllllll15HIP_vector_typeIjLj3EES4_fi.uses_flat_scratch, 0
	.set _Z20gated_delta_net_cudaILi32ELb0ELb1EEvPKfS1_S1_S1_S1_S1_Pfllllllllllll15HIP_vector_typeIjLj3EES4_fi.has_dyn_sized_stack, 0
	.set _Z20gated_delta_net_cudaILi32ELb0ELb1EEvPKfS1_S1_S1_S1_S1_Pfllllllllllll15HIP_vector_typeIjLj3EES4_fi.has_recursion, 0
	.set _Z20gated_delta_net_cudaILi32ELb0ELb1EEvPKfS1_S1_S1_S1_S1_Pfllllllllllll15HIP_vector_typeIjLj3EES4_fi.has_indirect_call, 0
	.section	.AMDGPU.csdata,"",@progbits
; Kernel info:
; codeLenInByte = 1328
; TotalNumSgprs: 60
; NumVgprs: 21
; ScratchSize: 0
; MemoryBound: 0
; FloatMode: 240
; IeeeMode: 1
; LDSByteSize: 0 bytes/workgroup (compile time only)
; SGPRBlocks: 7
; VGPRBlocks: 5
; NumSGPRsForWavesPerEU: 60
; NumVGPRsForWavesPerEU: 21
; Occupancy: 10
; WaveLimiterHint : 1
; COMPUTE_PGM_RSRC2:SCRATCH_EN: 0
; COMPUTE_PGM_RSRC2:USER_SGPR: 6
; COMPUTE_PGM_RSRC2:TRAP_HANDLER: 0
; COMPUTE_PGM_RSRC2:TGID_X_EN: 1
; COMPUTE_PGM_RSRC2:TGID_Y_EN: 1
; COMPUTE_PGM_RSRC2:TGID_Z_EN: 1
; COMPUTE_PGM_RSRC2:TIDIG_COMP_CNT: 1
	.section	.text._Z20gated_delta_net_cudaILi64ELb0ELb1EEvPKfS1_S1_S1_S1_S1_Pfllllllllllll15HIP_vector_typeIjLj3EES4_fi,"axG",@progbits,_Z20gated_delta_net_cudaILi64ELb0ELb1EEvPKfS1_S1_S1_S1_S1_Pfllllllllllll15HIP_vector_typeIjLj3EES4_fi,comdat
	.protected	_Z20gated_delta_net_cudaILi64ELb0ELb1EEvPKfS1_S1_S1_S1_S1_Pfllllllllllll15HIP_vector_typeIjLj3EES4_fi ; -- Begin function _Z20gated_delta_net_cudaILi64ELb0ELb1EEvPKfS1_S1_S1_S1_S1_Pfllllllllllll15HIP_vector_typeIjLj3EES4_fi
	.globl	_Z20gated_delta_net_cudaILi64ELb0ELb1EEvPKfS1_S1_S1_S1_S1_Pfllllllllllll15HIP_vector_typeIjLj3EES4_fi
	.p2align	8
	.type	_Z20gated_delta_net_cudaILi64ELb0ELb1EEvPKfS1_S1_S1_S1_S1_Pfllllllllllll15HIP_vector_typeIjLj3EES4_fi,@function
_Z20gated_delta_net_cudaILi64ELb0ELb1EEvPKfS1_S1_S1_S1_S1_Pfllllllllllll15HIP_vector_typeIjLj3EES4_fi: ; @_Z20gated_delta_net_cudaILi64ELb0ELb1EEvPKfS1_S1_S1_S1_S1_Pfllllllllllll15HIP_vector_typeIjLj3EES4_fi
; %bb.0:
	s_load_dwordx16 s[12:27], s[4:5], 0x40
	s_waitcnt lgkmcnt(0)
	v_cmp_lt_i64_e64 s[0:1], s[12:13], 1
	s_and_b64 vcc, exec, s[0:1]
	s_cbranch_vccnz .LBB10_7
; %bb.1:
	s_load_dwordx16 s[36:51], s[4:5], 0x0
	s_load_dwordx4 s[0:3], s[4:5], 0x80
	s_load_dwordx2 s[30:31], s[4:5], 0x90
	s_mov_b32 s29, 0
	v_lshlrev_b32_e32 v14, 2, v0
	s_waitcnt lgkmcnt(0)
	s_mul_i32 s9, s50, s15
	s_mul_hi_u32 s10, s50, s14
	s_mul_i32 s11, s51, s14
	s_add_i32 s9, s10, s9
	s_add_i32 s15, s9, s11
	s_mul_i32 s9, s51, s7
	s_mul_hi_u32 s10, s50, s7
	s_add_i32 s35, s10, s9
	s_mul_i32 s34, s50, s7
	s_lshl_b64 s[10:11], s[34:35], 14
	s_add_u32 s9, s46, s10
	s_addc_u32 s33, s47, s11
	s_load_dwordx2 s[10:11], s[4:5], 0xb0
	s_load_dword s46, s[4:5], 0xc4
	s_lshl_b32 s28, s6, 12
	s_lshl_b64 s[28:29], s[28:29], 2
	s_add_u32 s9, s9, s28
	s_addc_u32 s28, s33, s29
	s_waitcnt lgkmcnt(0)
	s_lshr_b32 s29, s46, 16
	s_mul_i32 s8, s8, s29
	v_add_u32_e32 v1, s8, v1
	v_lshlrev_b32_e32 v3, 6, v1
	v_ashrrev_i32_e32 v4, 31, v3
	v_lshlrev_b64 v[4:5], 2, v[3:4]
	v_mov_b32_e32 v2, s28
	v_add_co_u32_e32 v4, vcc, s9, v4
	v_addc_co_u32_e32 v2, vcc, v2, v5, vcc
	v_add_co_u32_e32 v6, vcc, v4, v14
	v_addc_co_u32_e32 v7, vcc, 0, v2, vcc
	global_load_dword v6, v[6:7], off
	s_mul_i32 s9, s34, s13
	s_mul_hi_u32 s28, s34, s12
	s_mul_i32 s8, s35, s12
	s_add_i32 s9, s28, s9
	s_add_i32 s9, s9, s8
	s_mul_i32 s8, s34, s12
	s_add_u32 s8, s8, s6
	s_addc_u32 s9, s9, 0
	s_mul_i32 s14, s50, s14
	s_lshl_b64 s[28:29], s[8:9], 8
	s_load_dwordx4 s[52:55], s[4:5], 0x98
	s_add_u32 s8, s34, s6
	s_mul_i32 s33, s14, s13
	s_mul_hi_u32 s34, s14, s12
	s_addc_u32 s9, s35, 0
	s_add_i32 s33, s34, s33
	s_mul_i32 s34, s15, s12
	s_load_dword s4, s[4:5], 0xa8
	s_add_i32 s35, s33, s34
	s_mul_i32 s34, s14, s12
	s_lshl_b64 s[34:35], s[34:35], 8
	s_add_u32 s33, s48, s34
	s_waitcnt lgkmcnt(0)
	s_mul_hi_u32 s5, s55, s7
	s_addc_u32 s34, s49, s35
	s_add_i32 s5, s7, s5
	v_mbcnt_lo_u32_b32 v2, -1, 0
	s_lshr_b32 s35, s5, s4
	s_mul_hi_u32 s4, s52, s6
	v_mbcnt_hi_u32_b32 v2, -1, v2
	s_add_i32 s4, s6, s4
	v_and_b32_e32 v4, 64, v2
	s_lshr_b32 s4, s4, s53
	v_add_u32_e32 v4, 64, v4
	v_xor_b32_e32 v7, 32, v2
	s_mul_i32 s4, s4, s54
	v_cmp_lt_i32_e32 vcc, v7, v4
	v_xor_b32_e32 v8, 16, v2
	s_sub_i32 s46, s6, s4
	s_mul_i32 s4, s27, s7
	s_mul_hi_u32 s5, s26, s7
	v_cndmask_b32_e32 v7, v2, v7, vcc
	v_cmp_lt_i32_e32 vcc, v8, v4
	v_xor_b32_e32 v9, 8, v2
	s_add_i32 s5, s5, s4
	s_mul_i32 s4, s26, s7
	v_cndmask_b32_e32 v8, v2, v8, vcc
	v_cmp_lt_i32_e32 vcc, v9, v4
	v_xor_b32_e32 v10, 4, v2
	s_lshl_b64 s[4:5], s[4:5], 2
	v_cndmask_b32_e32 v9, v2, v9, vcc
	v_cmp_lt_i32_e32 vcc, v10, v4
	v_xor_b32_e32 v11, 2, v2
	s_add_u32 s26, s40, s4
	v_cndmask_b32_e32 v10, v2, v10, vcc
	v_cmp_lt_i32_e32 vcc, v11, v4
	v_xor_b32_e32 v12, 1, v2
	s_addc_u32 s27, s41, s5
	s_mul_i32 s4, s23, s6
	s_mul_hi_u32 s5, s22, s6
	v_cndmask_b32_e32 v11, v2, v11, vcc
	v_cmp_lt_i32_e32 vcc, v12, v4
	s_add_i32 s5, s5, s4
	s_mul_i32 s4, s22, s6
	v_cndmask_b32_e32 v2, v2, v12, vcc
	s_lshl_b64 s[4:5], s[4:5], 2
	v_lshlrev_b32_e32 v12, 2, v2
	v_ashrrev_i32_e32 v2, 31, v1
	s_add_u32 s4, s26, s4
	v_lshlrev_b64 v[16:17], 2, v[1:2]
	s_addc_u32 s5, s27, s5
	s_mul_i32 s22, s31, s7
	s_mul_hi_u32 s23, s30, s7
	s_mul_i32 s26, s30, s7
	s_mul_i32 s1, s1, s6
	s_mul_hi_u32 s7, s0, s6
	v_add_u32_e32 v3, v3, v0
	s_add_i32 s23, s23, s22
	s_add_i32 s27, s7, s1
	s_mul_i32 s30, s0, s6
	v_mov_b32_e32 v2, s5
	v_add_co_u32_e32 v1, vcc, s4, v16
	s_lshl_b64 s[4:5], s[14:15], 12
	s_lshl_b64 s[6:7], s[8:9], 14
	v_ashrrev_i32_e32 v4, 31, v3
	s_add_u32 s6, s33, s6
	v_lshlrev_b64 v[3:4], 2, v[3:4]
	v_addc_co_u32_e32 v2, vcc, v2, v17, vcc
	s_addc_u32 s7, s34, s7
	v_cmp_eq_u32_e64 s[0:1], 0, v0
	v_mov_b32_e32 v13, s7
	v_add_co_u32_e32 v0, vcc, s6, v3
	s_mul_i32 s6, s21, s35
	s_mul_hi_u32 s7, s20, s35
	s_mul_i32 s8, s17, s46
	s_mul_hi_u32 s9, s16, s46
	s_add_i32 s7, s7, s6
	s_mul_i32 s6, s20, s35
	s_add_i32 s9, s9, s8
	s_mul_i32 s8, s16, s46
	s_add_i32 s22, s12, -1
	s_lshl_b64 s[6:7], s[6:7], 2
	s_lshl_b64 s[8:9], s[8:9], 2
	s_add_u32 s6, s6, s8
	v_addc_co_u32_e32 v13, vcc, v13, v4, vcc
	s_addc_u32 s7, s7, s9
	v_mov_b32_e32 v3, s7
	v_add_co_u32_e32 v14, vcc, s6, v14
	s_lshl_b64 s[6:7], s[18:19], 2
	s_lshl_b64 s[8:9], s[24:25], 2
	s_add_u32 s14, s26, s30
	s_addc_u32 s15, s23, s27
	s_lshl_b64 s[14:15], s[14:15], 2
	s_lshl_b64 s[16:17], s[2:3], 2
	s_add_u32 s2, s48, s28
	v_addc_co_u32_e32 v15, vcc, 0, v3, vcc
	s_addc_u32 s3, s49, s29
	v_mov_b32_e32 v4, s3
	v_add_co_u32_e32 v3, vcc, s2, v16
	v_mov_b32_e32 v5, 0
	v_lshlrev_b32_e32 v7, 2, v7
	v_lshlrev_b32_e32 v8, 2, v8
	;; [unrolled: 1-line block ×5, first 2 shown]
	v_addc_co_u32_e32 v4, vcc, v4, v17, vcc
	s_lshl_b64 s[18:19], s[50:51], 8
	s_mov_b64 s[20:21], 0
	s_mov_b32 s23, 0x3fb8aa3b
	s_mov_b32 s24, 0xc2ce8ed0
	;; [unrolled: 1-line block ×3, first 2 shown]
	v_mov_b32_e32 v16, 0x7f800000
	s_branch .LBB10_3
.LBB10_2:                               ;   in Loop: Header=BB10_3 Depth=1
	v_mov_b32_e32 v17, s7
	v_add_co_u32_e32 v14, vcc, s6, v14
	v_addc_co_u32_e32 v15, vcc, v15, v17, vcc
	s_add_u32 s20, s20, 1
	v_mov_b32_e32 v17, s9
	v_add_co_u32_e32 v1, vcc, s8, v1
	s_addc_u32 s21, s21, 0
	v_addc_co_u32_e32 v2, vcc, v2, v17, vcc
	s_waitcnt lgkmcnt(0)
	v_mov_b32_e32 v17, s20
	v_mov_b32_e32 v18, s21
	s_add_i32 s22, s22, -1
	v_cmp_le_i64_e32 vcc, s[12:13], v[17:18]
	s_add_u32 s14, s14, s16
	v_mov_b32_e32 v19, s19
	v_add_co_u32_e64 v3, s[2:3], s18, v3
	s_addc_u32 s15, s15, s17
	v_addc_co_u32_e64 v4, s[2:3], v4, v19, s[2:3]
	s_cbranch_vccnz .LBB10_7
.LBB10_3:                               ; =>This Inner Loop Header: Depth=1
	s_add_u32 s26, s44, s14
	s_addc_u32 s27, s45, s15
	v_mov_b32_e32 v18, s39
	v_add_co_u32_e32 v17, vcc, s38, v14
	s_add_u32 s2, s42, s14
	v_addc_co_u32_e32 v18, vcc, v18, v15, vcc
	s_addc_u32 s3, s43, s15
	global_load_dword v17, v[17:18], off
	s_nop 0
	global_load_dword v18, v5, s[2:3]
	s_waitcnt vmcnt(0)
	v_mul_f32_e32 v19, 0x3fb8aa3b, v18
	v_fma_f32 v20, v18, s23, -v19
	v_cmp_ngt_f32_e32 vcc, s24, v18
	v_cmp_nlt_f32_e64 s[2:3], s25, v18
	v_fmac_f32_e32 v20, 0x32a5705f, v18
	v_rndne_f32_e32 v18, v19
	v_sub_f32_e32 v19, v19, v18
	v_add_f32_e32 v19, v19, v20
	v_fma_f32 v20, v6, v17, 0
	ds_bpermute_b32 v21, v7, v20
	v_cvt_i32_f32_e32 v18, v18
	v_exp_f32_e32 v19, v19
	s_waitcnt lgkmcnt(0)
	v_add_f32_e32 v20, v20, v21
	v_ldexp_f32 v18, v19, v18
	ds_bpermute_b32 v19, v8, v20
	v_cndmask_b32_e32 v18, 0, v18, vcc
	v_cndmask_b32_e64 v18, v16, v18, s[2:3]
	v_mul_f32_e32 v6, v18, v6
	s_waitcnt lgkmcnt(0)
	v_add_f32_e32 v19, v20, v19
	ds_bpermute_b32 v20, v9, v19
	s_waitcnt lgkmcnt(0)
	v_add_f32_e32 v19, v19, v20
	ds_bpermute_b32 v20, v10, v19
	;; [unrolled: 3-line block ×4, first 2 shown]
	s_waitcnt lgkmcnt(0)
	v_add_f32_e32 v19, v19, v20
	global_load_dword v20, v[1:2], off
	s_waitcnt vmcnt(0)
	v_fma_f32 v19, -v18, v19, v20
	global_load_dword v18, v5, s[26:27]
	s_waitcnt vmcnt(0)
	v_mul_f32_e32 v18, v18, v19
	v_fmac_f32_e32 v6, v17, v18
	v_mov_b32_e32 v18, s37
	v_add_co_u32_e32 v17, vcc, s36, v14
	v_addc_co_u32_e32 v18, vcc, v18, v15, vcc
	global_load_dword v17, v[17:18], off
	s_waitcnt vmcnt(0)
	v_fma_f32 v17, v17, v6, 0
	ds_bpermute_b32 v18, v7, v17
	s_waitcnt lgkmcnt(0)
	v_add_f32_e32 v17, v17, v18
	ds_bpermute_b32 v18, v8, v17
	s_waitcnt lgkmcnt(0)
	v_add_f32_e32 v17, v17, v18
	;; [unrolled: 3-line block ×5, first 2 shown]
	ds_bpermute_b32 v18, v12, v17
	s_and_saveexec_b64 s[2:3], s[0:1]
	s_cbranch_execz .LBB10_5
; %bb.4:                                ;   in Loop: Header=BB10_3 Depth=1
	s_waitcnt lgkmcnt(0)
	v_add_f32_e32 v17, v17, v18
	v_mul_f32_e32 v17, s10, v17
	global_store_dword v[3:4], v17, off
.LBB10_5:                               ;   in Loop: Header=BB10_3 Depth=1
	s_or_b64 exec, exec, s[2:3]
	s_cmp_lt_i32 s22, 0
	s_cselect_b64 s[2:3], -1, 0
	s_cmp_ge_i32 s22, s11
	s_cselect_b64 s[26:27], -1, 0
	s_or_b64 s[2:3], s[2:3], s[26:27]
	s_and_b64 vcc, exec, s[2:3]
	s_cbranch_vccnz .LBB10_2
; %bb.6:                                ;   in Loop: Header=BB10_3 Depth=1
	s_mul_i32 s2, s5, s22
	s_mul_hi_u32 s3, s4, s22
	s_add_i32 s3, s3, s2
	s_mul_i32 s2, s4, s22
	s_lshl_b64 s[2:3], s[2:3], 2
	s_waitcnt lgkmcnt(0)
	v_mov_b32_e32 v18, s3
	v_add_co_u32_e32 v17, vcc, s2, v0
	v_addc_co_u32_e32 v18, vcc, v13, v18, vcc
	global_store_dword v[17:18], v6, off
	s_branch .LBB10_2
.LBB10_7:
	s_endpgm
	.section	.rodata,"a",@progbits
	.p2align	6, 0x0
	.amdhsa_kernel _Z20gated_delta_net_cudaILi64ELb0ELb1EEvPKfS1_S1_S1_S1_S1_Pfllllllllllll15HIP_vector_typeIjLj3EES4_fi
		.amdhsa_group_segment_fixed_size 0
		.amdhsa_private_segment_fixed_size 0
		.amdhsa_kernarg_size 440
		.amdhsa_user_sgpr_count 6
		.amdhsa_user_sgpr_private_segment_buffer 1
		.amdhsa_user_sgpr_dispatch_ptr 0
		.amdhsa_user_sgpr_queue_ptr 0
		.amdhsa_user_sgpr_kernarg_segment_ptr 1
		.amdhsa_user_sgpr_dispatch_id 0
		.amdhsa_user_sgpr_flat_scratch_init 0
		.amdhsa_user_sgpr_private_segment_size 0
		.amdhsa_uses_dynamic_stack 0
		.amdhsa_system_sgpr_private_segment_wavefront_offset 0
		.amdhsa_system_sgpr_workgroup_id_x 1
		.amdhsa_system_sgpr_workgroup_id_y 1
		.amdhsa_system_sgpr_workgroup_id_z 1
		.amdhsa_system_sgpr_workgroup_info 0
		.amdhsa_system_vgpr_workitem_id 1
		.amdhsa_next_free_vgpr 22
		.amdhsa_next_free_sgpr 56
		.amdhsa_reserve_vcc 1
		.amdhsa_reserve_flat_scratch 0
		.amdhsa_float_round_mode_32 0
		.amdhsa_float_round_mode_16_64 0
		.amdhsa_float_denorm_mode_32 3
		.amdhsa_float_denorm_mode_16_64 3
		.amdhsa_dx10_clamp 1
		.amdhsa_ieee_mode 1
		.amdhsa_fp16_overflow 0
		.amdhsa_exception_fp_ieee_invalid_op 0
		.amdhsa_exception_fp_denorm_src 0
		.amdhsa_exception_fp_ieee_div_zero 0
		.amdhsa_exception_fp_ieee_overflow 0
		.amdhsa_exception_fp_ieee_underflow 0
		.amdhsa_exception_fp_ieee_inexact 0
		.amdhsa_exception_int_div_zero 0
	.end_amdhsa_kernel
	.section	.text._Z20gated_delta_net_cudaILi64ELb0ELb1EEvPKfS1_S1_S1_S1_S1_Pfllllllllllll15HIP_vector_typeIjLj3EES4_fi,"axG",@progbits,_Z20gated_delta_net_cudaILi64ELb0ELb1EEvPKfS1_S1_S1_S1_S1_Pfllllllllllll15HIP_vector_typeIjLj3EES4_fi,comdat
.Lfunc_end10:
	.size	_Z20gated_delta_net_cudaILi64ELb0ELb1EEvPKfS1_S1_S1_S1_S1_Pfllllllllllll15HIP_vector_typeIjLj3EES4_fi, .Lfunc_end10-_Z20gated_delta_net_cudaILi64ELb0ELb1EEvPKfS1_S1_S1_S1_S1_Pfllllllllllll15HIP_vector_typeIjLj3EES4_fi
                                        ; -- End function
	.set _Z20gated_delta_net_cudaILi64ELb0ELb1EEvPKfS1_S1_S1_S1_S1_Pfllllllllllll15HIP_vector_typeIjLj3EES4_fi.num_vgpr, 22
	.set _Z20gated_delta_net_cudaILi64ELb0ELb1EEvPKfS1_S1_S1_S1_S1_Pfllllllllllll15HIP_vector_typeIjLj3EES4_fi.num_agpr, 0
	.set _Z20gated_delta_net_cudaILi64ELb0ELb1EEvPKfS1_S1_S1_S1_S1_Pfllllllllllll15HIP_vector_typeIjLj3EES4_fi.numbered_sgpr, 56
	.set _Z20gated_delta_net_cudaILi64ELb0ELb1EEvPKfS1_S1_S1_S1_S1_Pfllllllllllll15HIP_vector_typeIjLj3EES4_fi.num_named_barrier, 0
	.set _Z20gated_delta_net_cudaILi64ELb0ELb1EEvPKfS1_S1_S1_S1_S1_Pfllllllllllll15HIP_vector_typeIjLj3EES4_fi.private_seg_size, 0
	.set _Z20gated_delta_net_cudaILi64ELb0ELb1EEvPKfS1_S1_S1_S1_S1_Pfllllllllllll15HIP_vector_typeIjLj3EES4_fi.uses_vcc, 1
	.set _Z20gated_delta_net_cudaILi64ELb0ELb1EEvPKfS1_S1_S1_S1_S1_Pfllllllllllll15HIP_vector_typeIjLj3EES4_fi.uses_flat_scratch, 0
	.set _Z20gated_delta_net_cudaILi64ELb0ELb1EEvPKfS1_S1_S1_S1_S1_Pfllllllllllll15HIP_vector_typeIjLj3EES4_fi.has_dyn_sized_stack, 0
	.set _Z20gated_delta_net_cudaILi64ELb0ELb1EEvPKfS1_S1_S1_S1_S1_Pfllllllllllll15HIP_vector_typeIjLj3EES4_fi.has_recursion, 0
	.set _Z20gated_delta_net_cudaILi64ELb0ELb1EEvPKfS1_S1_S1_S1_S1_Pfllllllllllll15HIP_vector_typeIjLj3EES4_fi.has_indirect_call, 0
	.section	.AMDGPU.csdata,"",@progbits
; Kernel info:
; codeLenInByte = 1372
; TotalNumSgprs: 60
; NumVgprs: 22
; ScratchSize: 0
; MemoryBound: 0
; FloatMode: 240
; IeeeMode: 1
; LDSByteSize: 0 bytes/workgroup (compile time only)
; SGPRBlocks: 7
; VGPRBlocks: 5
; NumSGPRsForWavesPerEU: 60
; NumVGPRsForWavesPerEU: 22
; Occupancy: 10
; WaveLimiterHint : 1
; COMPUTE_PGM_RSRC2:SCRATCH_EN: 0
; COMPUTE_PGM_RSRC2:USER_SGPR: 6
; COMPUTE_PGM_RSRC2:TRAP_HANDLER: 0
; COMPUTE_PGM_RSRC2:TGID_X_EN: 1
; COMPUTE_PGM_RSRC2:TGID_Y_EN: 1
; COMPUTE_PGM_RSRC2:TGID_Z_EN: 1
; COMPUTE_PGM_RSRC2:TIDIG_COMP_CNT: 1
	.section	.text._Z20gated_delta_net_cudaILi128ELb0ELb1EEvPKfS1_S1_S1_S1_S1_Pfllllllllllll15HIP_vector_typeIjLj3EES4_fi,"axG",@progbits,_Z20gated_delta_net_cudaILi128ELb0ELb1EEvPKfS1_S1_S1_S1_S1_Pfllllllllllll15HIP_vector_typeIjLj3EES4_fi,comdat
	.protected	_Z20gated_delta_net_cudaILi128ELb0ELb1EEvPKfS1_S1_S1_S1_S1_Pfllllllllllll15HIP_vector_typeIjLj3EES4_fi ; -- Begin function _Z20gated_delta_net_cudaILi128ELb0ELb1EEvPKfS1_S1_S1_S1_S1_Pfllllllllllll15HIP_vector_typeIjLj3EES4_fi
	.globl	_Z20gated_delta_net_cudaILi128ELb0ELb1EEvPKfS1_S1_S1_S1_S1_Pfllllllllllll15HIP_vector_typeIjLj3EES4_fi
	.p2align	8
	.type	_Z20gated_delta_net_cudaILi128ELb0ELb1EEvPKfS1_S1_S1_S1_S1_Pfllllllllllll15HIP_vector_typeIjLj3EES4_fi,@function
_Z20gated_delta_net_cudaILi128ELb0ELb1EEvPKfS1_S1_S1_S1_S1_Pfllllllllllll15HIP_vector_typeIjLj3EES4_fi: ; @_Z20gated_delta_net_cudaILi128ELb0ELb1EEvPKfS1_S1_S1_S1_S1_Pfllllllllllll15HIP_vector_typeIjLj3EES4_fi
; %bb.0:
	s_load_dwordx16 s[12:27], s[4:5], 0x40
	s_waitcnt lgkmcnt(0)
	v_cmp_lt_i64_e64 s[0:1], s[12:13], 1
	s_and_b64 vcc, exec, s[0:1]
	s_cbranch_vccnz .LBB11_7
; %bb.1:
	s_load_dwordx16 s[36:51], s[4:5], 0x0
	s_load_dwordx4 s[0:3], s[4:5], 0x80
	s_load_dwordx2 s[52:53], s[4:5], 0x90
	s_load_dwordx4 s[56:59], s[4:5], 0x98
	v_mov_b32_e32 v6, 0
	s_waitcnt lgkmcnt(0)
	s_mul_i32 s9, s51, s7
	s_mul_hi_u32 s11, s50, s7
	s_mul_i32 s10, s50, s7
	s_add_i32 s11, s11, s9
	s_mul_i32 s28, s10, s13
	s_mul_hi_u32 s29, s10, s12
	s_mul_i32 s9, s11, s12
	s_add_i32 s28, s29, s28
	s_add_i32 s9, s28, s9
	s_mul_i32 s28, s10, s12
	s_add_u32 s28, s28, s6
	s_addc_u32 s29, s9, 0
	s_lshl_b64 s[28:29], s[28:29], 9
	s_mul_i32 s34, s50, s14
	s_add_u32 s30, s10, s6
	s_mul_i32 s9, s34, s13
	s_mul_hi_u32 s33, s34, s12
	s_addc_u32 s31, s11, 0
	s_add_i32 s9, s33, s9
	s_mul_i32 s15, s50, s15
	s_mul_hi_u32 s33, s50, s14
	s_add_i32 s15, s33, s15
	s_mul_i32 s14, s51, s14
	s_add_i32 s35, s15, s14
	s_mul_i32 s14, s35, s12
	s_add_i32 s15, s9, s14
	s_mul_i32 s14, s34, s12
	s_lshl_b64 s[14:15], s[14:15], 9
	s_add_u32 s9, s48, s14
	s_load_dword s14, s[4:5], 0xa8
	s_addc_u32 s33, s49, s15
	s_mul_hi_u32 s15, s56, s6
	s_add_i32 s15, s6, s15
	s_mul_hi_u32 s54, s59, s7
	s_lshr_b32 s15, s15, s57
	s_mul_i32 s55, s15, s58
	s_add_i32 s54, s7, s54
	s_waitcnt lgkmcnt(0)
	s_lshr_b32 s54, s54, s14
	s_sub_i32 s55, s6, s55
	s_lshl_b64 s[10:11], s[10:11], 16
	s_add_u32 s46, s46, s10
	s_addc_u32 s47, s47, s11
	s_load_dwordx2 s[10:11], s[4:5], 0xb0
	s_load_dword s56, s[4:5], 0xc4
	s_mov_b32 s15, 0
	s_lshl_b32 s14, s6, 14
	s_lshl_b64 s[4:5], s[14:15], 2
	s_add_u32 s4, s46, s4
	s_addc_u32 s5, s47, s5
	s_waitcnt lgkmcnt(0)
	s_lshr_b32 s14, s56, 16
	s_mul_i32 s8, s8, s14
	v_add_u32_e32 v1, s8, v1
	v_lshlrev_b32_e32 v3, 7, v1
	v_ashrrev_i32_e32 v4, 31, v3
	v_lshlrev_b64 v[4:5], 2, v[3:4]
	v_mov_b32_e32 v2, s5
	v_add_co_u32_e32 v4, vcc, s4, v4
	v_addc_co_u32_e32 v2, vcc, v2, v5, vcc
	v_lshlrev_b32_e32 v5, 2, v0
	v_add_co_u32_e32 v8, vcc, v4, v5
	v_addc_co_u32_e32 v9, vcc, 0, v2, vcc
	global_load_dword v7, v[8:9], off
	s_nop 0
	global_load_dword v8, v[8:9], off offset:256
	v_mbcnt_lo_u32_b32 v2, -1, 0
	v_mbcnt_hi_u32_b32 v2, -1, v2
	v_and_b32_e32 v4, 64, v2
	v_add_u32_e32 v4, 64, v4
	v_xor_b32_e32 v9, 32, v2
	v_cmp_lt_i32_e32 vcc, v9, v4
	v_xor_b32_e32 v10, 16, v2
	s_mul_i32 s4, s27, s7
	s_mul_hi_u32 s5, s26, s7
	v_cndmask_b32_e32 v9, v2, v9, vcc
	v_cmp_lt_i32_e32 vcc, v10, v4
	v_xor_b32_e32 v11, 8, v2
	s_add_i32 s5, s5, s4
	s_mul_i32 s4, s26, s7
	v_cndmask_b32_e32 v10, v2, v10, vcc
	v_cmp_lt_i32_e32 vcc, v11, v4
	v_xor_b32_e32 v12, 4, v2
	s_lshl_b64 s[4:5], s[4:5], 2
	v_cndmask_b32_e32 v11, v2, v11, vcc
	v_cmp_lt_i32_e32 vcc, v12, v4
	v_xor_b32_e32 v13, 2, v2
	s_add_u32 s8, s40, s4
	v_cndmask_b32_e32 v12, v2, v12, vcc
	v_cmp_lt_i32_e32 vcc, v13, v4
	v_xor_b32_e32 v14, 1, v2
	s_addc_u32 s14, s41, s5
	s_mul_i32 s4, s23, s6
	s_mul_hi_u32 s5, s22, s6
	v_cndmask_b32_e32 v13, v2, v13, vcc
	v_cmp_lt_i32_e32 vcc, v14, v4
	s_add_i32 s5, s5, s4
	s_mul_i32 s4, s22, s6
	v_cndmask_b32_e32 v2, v2, v14, vcc
	s_lshl_b64 s[4:5], s[4:5], 2
	v_lshlrev_b32_e32 v14, 2, v2
	v_ashrrev_i32_e32 v2, 31, v1
	s_add_u32 s4, s8, s4
	v_lshlrev_b64 v[16:17], 2, v[1:2]
	s_addc_u32 s5, s14, s5
	s_mul_i32 s8, s53, s7
	s_mul_hi_u32 s14, s52, s7
	s_mul_i32 s40, s52, s7
	s_mul_i32 s1, s1, s6
	s_mul_hi_u32 s7, s0, s6
	v_add_u32_e32 v3, v3, v0
	s_add_i32 s27, s14, s8
	s_add_i32 s41, s7, s1
	s_mul_i32 s46, s0, s6
	v_mov_b32_e32 v2, s5
	v_add_co_u32_e32 v1, vcc, s4, v16
	s_lshl_b64 s[4:5], s[34:35], 14
	s_lshl_b64 s[6:7], s[30:31], 16
	v_ashrrev_i32_e32 v4, 31, v3
	s_add_u32 s6, s9, s6
	v_lshlrev_b64 v[3:4], 2, v[3:4]
	v_addc_co_u32_e32 v2, vcc, v2, v17, vcc
	s_addc_u32 s7, s33, s7
	s_add_i32 s22, s12, -1
	v_cmp_eq_u32_e64 s[0:1], 0, v0
	v_mov_b32_e32 v15, s7
	v_add_co_u32_e32 v0, vcc, s6, v3
	s_add_u32 s6, s48, s28
	s_mul_i32 s8, s21, s54
	s_mul_hi_u32 s9, s20, s54
	s_mul_i32 s14, s17, s55
	s_mul_hi_u32 s15, s16, s55
	v_addc_co_u32_e32 v15, vcc, v15, v4, vcc
	s_addc_u32 s7, s49, s29
	s_add_i32 s9, s9, s8
	s_mul_i32 s8, s20, s54
	s_add_i32 s15, s15, s14
	s_mul_i32 s14, s16, s55
	v_mov_b32_e32 v4, s7
	v_add_co_u32_e32 v3, vcc, s6, v16
	s_lshl_b64 s[6:7], s[50:51], 9
	s_lshl_b64 s[8:9], s[8:9], 2
	;; [unrolled: 1-line block ×3, first 2 shown]
	s_add_u32 s8, s8, s14
	s_addc_u32 s9, s9, s15
	s_add_u32 s20, s8, 0x100
	s_addc_u32 s21, s9, 0
	;; [unrolled: 2-line block ×3, first 2 shown]
	s_lshl_b64 s[8:9], s[18:19], 2
	s_add_u32 s14, s40, s46
	s_addc_u32 s15, s27, s41
	s_lshl_b64 s[14:15], s[14:15], 2
	s_lshl_b64 s[16:17], s[2:3], 2
	s_add_u32 s27, s38, s20
	v_lshlrev_b32_e32 v9, 2, v9
	v_lshlrev_b32_e32 v10, 2, v10
	v_lshlrev_b32_e32 v11, 2, v11
	v_lshlrev_b32_e32 v12, 2, v12
	v_lshlrev_b32_e32 v13, 2, v13
	v_addc_co_u32_e32 v4, vcc, v4, v17, vcc
	s_addc_u32 s28, s39, s21
	s_lshl_b64 s[18:19], s[24:25], 2
	s_mov_b64 s[20:21], 0
	s_mov_b32 s24, 0x3fb8aa3b
	s_mov_b32 s25, 0xc2ce8ed0
	s_mov_b32 s29, 0x42b17218
	v_mov_b32_e32 v16, 0x7f800000
	s_branch .LBB11_3
.LBB11_2:                               ;   in Loop: Header=BB11_3 Depth=1
	s_add_u32 s20, s20, 1
	s_addc_u32 s21, s21, 0
	s_add_i32 s22, s22, -1
	v_mov_b32_e32 v17, s7
	v_add_co_u32_e32 v3, vcc, s6, v3
	s_add_u32 s23, s23, s8
	v_addc_co_u32_e32 v4, vcc, v4, v17, vcc
	s_addc_u32 s26, s26, s9
	s_waitcnt lgkmcnt(0)
	v_mov_b32_e32 v17, s20
	s_add_u32 s14, s14, s16
	v_mov_b32_e32 v18, s21
	s_addc_u32 s15, s15, s17
	v_cmp_le_i64_e32 vcc, s[12:13], v[17:18]
	s_add_u32 s27, s27, s8
	v_mov_b32_e32 v19, s19
	v_add_co_u32_e64 v1, s[2:3], s18, v1
	s_addc_u32 s28, s28, s9
	v_addc_co_u32_e64 v2, s[2:3], v2, v19, s[2:3]
	s_cbranch_vccnz .LBB11_7
.LBB11_3:                               ; =>This Inner Loop Header: Depth=1
	s_add_u32 s30, s44, s14
	s_addc_u32 s31, s45, s15
	v_mov_b32_e32 v18, s28
	v_add_co_u32_e32 v17, vcc, s27, v5
	s_add_u32 s2, s42, s14
	v_addc_co_u32_e32 v18, vcc, 0, v18, vcc
	s_addc_u32 s3, s43, s15
	global_load_dword v19, v[17:18], off offset:-256
	global_load_dword v20, v[17:18], off
	s_waitcnt vmcnt(2)
	v_mov_b32_e32 v22, v8
	global_load_dword v17, v6, s[2:3]
	s_waitcnt vmcnt(0)
	v_mul_f32_e32 v18, 0x3fb8aa3b, v17
	v_fma_f32 v21, v17, s24, -v18
	v_cmp_ngt_f32_e32 vcc, s25, v17
	v_cmp_nlt_f32_e64 s[2:3], s29, v17
	v_fmac_f32_e32 v21, 0x32a5705f, v17
	v_rndne_f32_e32 v17, v18
	v_sub_f32_e32 v18, v18, v17
	v_add_f32_e32 v18, v18, v21
	v_mov_b32_e32 v21, v7
	v_fma_f32 v7, v21, v19, 0
	v_fmac_f32_e32 v7, v22, v20
	ds_bpermute_b32 v8, v9, v7
	s_waitcnt lgkmcnt(0)
	v_add_f32_e32 v7, v7, v8
	v_cvt_i32_f32_e32 v8, v17
	v_exp_f32_e32 v17, v18
	v_mov_b32_e32 v18, s26
	v_ldexp_f32 v8, v17, v8
	ds_bpermute_b32 v17, v10, v7
	v_cndmask_b32_e32 v8, 0, v8, vcc
	s_waitcnt lgkmcnt(0)
	v_add_f32_e32 v7, v7, v17
	ds_bpermute_b32 v17, v11, v7
	s_waitcnt lgkmcnt(0)
	v_add_f32_e32 v7, v7, v17
	ds_bpermute_b32 v17, v12, v7
	;; [unrolled: 3-line block ×4, first 2 shown]
	s_waitcnt lgkmcnt(0)
	v_add_f32_e32 v7, v7, v17
	v_cndmask_b32_e64 v17, v16, v8, s[2:3]
	global_load_dword v8, v[1:2], off
	s_waitcnt vmcnt(0)
	v_fma_f32 v7, -v17, v7, v8
	global_load_dword v8, v6, s[30:31]
	s_waitcnt vmcnt(0)
	v_mul_f32_e32 v8, v8, v7
	v_mul_f32_e32 v7, v8, v19
	;; [unrolled: 1-line block ×3, first 2 shown]
	v_fmac_f32_e32 v7, v17, v21
	v_fmac_f32_e32 v8, v17, v22
	v_add_co_u32_e32 v17, vcc, s23, v5
	v_addc_co_u32_e32 v18, vcc, 0, v18, vcc
	global_load_dword v19, v[17:18], off offset:-256
	global_load_dword v20, v[17:18], off
	s_waitcnt vmcnt(1)
	v_fma_f32 v17, v19, v7, 0
	s_waitcnt vmcnt(0)
	v_fmac_f32_e32 v17, v20, v8
	ds_bpermute_b32 v18, v9, v17
	s_waitcnt lgkmcnt(0)
	v_add_f32_e32 v17, v17, v18
	ds_bpermute_b32 v18, v10, v17
	s_waitcnt lgkmcnt(0)
	v_add_f32_e32 v17, v17, v18
	;; [unrolled: 3-line block ×5, first 2 shown]
	ds_bpermute_b32 v18, v14, v17
	s_and_saveexec_b64 s[2:3], s[0:1]
	s_cbranch_execz .LBB11_5
; %bb.4:                                ;   in Loop: Header=BB11_3 Depth=1
	s_waitcnt lgkmcnt(0)
	v_add_f32_e32 v17, v17, v18
	v_mul_f32_e32 v17, s10, v17
	global_store_dword v[3:4], v17, off
.LBB11_5:                               ;   in Loop: Header=BB11_3 Depth=1
	s_or_b64 exec, exec, s[2:3]
	s_cmp_lt_i32 s22, 0
	s_cselect_b64 s[2:3], -1, 0
	s_cmp_ge_i32 s22, s11
	s_cselect_b64 s[30:31], -1, 0
	s_or_b64 s[2:3], s[2:3], s[30:31]
	s_and_b64 vcc, exec, s[2:3]
	s_cbranch_vccnz .LBB11_2
; %bb.6:                                ;   in Loop: Header=BB11_3 Depth=1
	s_mul_i32 s2, s5, s22
	s_mul_hi_u32 s3, s4, s22
	s_add_i32 s3, s3, s2
	s_mul_i32 s2, s4, s22
	s_lshl_b64 s[2:3], s[2:3], 2
	s_waitcnt lgkmcnt(0)
	v_mov_b32_e32 v18, s3
	v_add_co_u32_e32 v17, vcc, s2, v0
	v_addc_co_u32_e32 v18, vcc, v15, v18, vcc
	global_store_dword v[17:18], v7, off
	global_store_dword v[17:18], v8, off offset:256
	s_branch .LBB11_2
.LBB11_7:
	s_endpgm
	.section	.rodata,"a",@progbits
	.p2align	6, 0x0
	.amdhsa_kernel _Z20gated_delta_net_cudaILi128ELb0ELb1EEvPKfS1_S1_S1_S1_S1_Pfllllllllllll15HIP_vector_typeIjLj3EES4_fi
		.amdhsa_group_segment_fixed_size 0
		.amdhsa_private_segment_fixed_size 0
		.amdhsa_kernarg_size 440
		.amdhsa_user_sgpr_count 6
		.amdhsa_user_sgpr_private_segment_buffer 1
		.amdhsa_user_sgpr_dispatch_ptr 0
		.amdhsa_user_sgpr_queue_ptr 0
		.amdhsa_user_sgpr_kernarg_segment_ptr 1
		.amdhsa_user_sgpr_dispatch_id 0
		.amdhsa_user_sgpr_flat_scratch_init 0
		.amdhsa_user_sgpr_private_segment_size 0
		.amdhsa_uses_dynamic_stack 0
		.amdhsa_system_sgpr_private_segment_wavefront_offset 0
		.amdhsa_system_sgpr_workgroup_id_x 1
		.amdhsa_system_sgpr_workgroup_id_y 1
		.amdhsa_system_sgpr_workgroup_id_z 1
		.amdhsa_system_sgpr_workgroup_info 0
		.amdhsa_system_vgpr_workitem_id 1
		.amdhsa_next_free_vgpr 23
		.amdhsa_next_free_sgpr 60
		.amdhsa_reserve_vcc 1
		.amdhsa_reserve_flat_scratch 0
		.amdhsa_float_round_mode_32 0
		.amdhsa_float_round_mode_16_64 0
		.amdhsa_float_denorm_mode_32 3
		.amdhsa_float_denorm_mode_16_64 3
		.amdhsa_dx10_clamp 1
		.amdhsa_ieee_mode 1
		.amdhsa_fp16_overflow 0
		.amdhsa_exception_fp_ieee_invalid_op 0
		.amdhsa_exception_fp_denorm_src 0
		.amdhsa_exception_fp_ieee_div_zero 0
		.amdhsa_exception_fp_ieee_overflow 0
		.amdhsa_exception_fp_ieee_underflow 0
		.amdhsa_exception_fp_ieee_inexact 0
		.amdhsa_exception_int_div_zero 0
	.end_amdhsa_kernel
	.section	.text._Z20gated_delta_net_cudaILi128ELb0ELb1EEvPKfS1_S1_S1_S1_S1_Pfllllllllllll15HIP_vector_typeIjLj3EES4_fi,"axG",@progbits,_Z20gated_delta_net_cudaILi128ELb0ELb1EEvPKfS1_S1_S1_S1_S1_Pfllllllllllll15HIP_vector_typeIjLj3EES4_fi,comdat
.Lfunc_end11:
	.size	_Z20gated_delta_net_cudaILi128ELb0ELb1EEvPKfS1_S1_S1_S1_S1_Pfllllllllllll15HIP_vector_typeIjLj3EES4_fi, .Lfunc_end11-_Z20gated_delta_net_cudaILi128ELb0ELb1EEvPKfS1_S1_S1_S1_S1_Pfllllllllllll15HIP_vector_typeIjLj3EES4_fi
                                        ; -- End function
	.set _Z20gated_delta_net_cudaILi128ELb0ELb1EEvPKfS1_S1_S1_S1_S1_Pfllllllllllll15HIP_vector_typeIjLj3EES4_fi.num_vgpr, 23
	.set _Z20gated_delta_net_cudaILi128ELb0ELb1EEvPKfS1_S1_S1_S1_S1_Pfllllllllllll15HIP_vector_typeIjLj3EES4_fi.num_agpr, 0
	.set _Z20gated_delta_net_cudaILi128ELb0ELb1EEvPKfS1_S1_S1_S1_S1_Pfllllllllllll15HIP_vector_typeIjLj3EES4_fi.numbered_sgpr, 60
	.set _Z20gated_delta_net_cudaILi128ELb0ELb1EEvPKfS1_S1_S1_S1_S1_Pfllllllllllll15HIP_vector_typeIjLj3EES4_fi.num_named_barrier, 0
	.set _Z20gated_delta_net_cudaILi128ELb0ELb1EEvPKfS1_S1_S1_S1_S1_Pfllllllllllll15HIP_vector_typeIjLj3EES4_fi.private_seg_size, 0
	.set _Z20gated_delta_net_cudaILi128ELb0ELb1EEvPKfS1_S1_S1_S1_S1_Pfllllllllllll15HIP_vector_typeIjLj3EES4_fi.uses_vcc, 1
	.set _Z20gated_delta_net_cudaILi128ELb0ELb1EEvPKfS1_S1_S1_S1_S1_Pfllllllllllll15HIP_vector_typeIjLj3EES4_fi.uses_flat_scratch, 0
	.set _Z20gated_delta_net_cudaILi128ELb0ELb1EEvPKfS1_S1_S1_S1_S1_Pfllllllllllll15HIP_vector_typeIjLj3EES4_fi.has_dyn_sized_stack, 0
	.set _Z20gated_delta_net_cudaILi128ELb0ELb1EEvPKfS1_S1_S1_S1_S1_Pfllllllllllll15HIP_vector_typeIjLj3EES4_fi.has_recursion, 0
	.set _Z20gated_delta_net_cudaILi128ELb0ELb1EEvPKfS1_S1_S1_S1_S1_Pfllllllllllll15HIP_vector_typeIjLj3EES4_fi.has_indirect_call, 0
	.section	.AMDGPU.csdata,"",@progbits
; Kernel info:
; codeLenInByte = 1456
; TotalNumSgprs: 64
; NumVgprs: 23
; ScratchSize: 0
; MemoryBound: 0
; FloatMode: 240
; IeeeMode: 1
; LDSByteSize: 0 bytes/workgroup (compile time only)
; SGPRBlocks: 7
; VGPRBlocks: 5
; NumSGPRsForWavesPerEU: 64
; NumVGPRsForWavesPerEU: 23
; Occupancy: 10
; WaveLimiterHint : 1
; COMPUTE_PGM_RSRC2:SCRATCH_EN: 0
; COMPUTE_PGM_RSRC2:USER_SGPR: 6
; COMPUTE_PGM_RSRC2:TRAP_HANDLER: 0
; COMPUTE_PGM_RSRC2:TGID_X_EN: 1
; COMPUTE_PGM_RSRC2:TGID_Y_EN: 1
; COMPUTE_PGM_RSRC2:TGID_Z_EN: 1
; COMPUTE_PGM_RSRC2:TIDIG_COMP_CNT: 1
	.section	.text._Z20gated_delta_net_cudaILi16ELb0ELb0EEvPKfS1_S1_S1_S1_S1_Pfllllllllllll15HIP_vector_typeIjLj3EES4_fi,"axG",@progbits,_Z20gated_delta_net_cudaILi16ELb0ELb0EEvPKfS1_S1_S1_S1_S1_Pfllllllllllll15HIP_vector_typeIjLj3EES4_fi,comdat
	.protected	_Z20gated_delta_net_cudaILi16ELb0ELb0EEvPKfS1_S1_S1_S1_S1_Pfllllllllllll15HIP_vector_typeIjLj3EES4_fi ; -- Begin function _Z20gated_delta_net_cudaILi16ELb0ELb0EEvPKfS1_S1_S1_S1_S1_Pfllllllllllll15HIP_vector_typeIjLj3EES4_fi
	.globl	_Z20gated_delta_net_cudaILi16ELb0ELb0EEvPKfS1_S1_S1_S1_S1_Pfllllllllllll15HIP_vector_typeIjLj3EES4_fi
	.p2align	8
	.type	_Z20gated_delta_net_cudaILi16ELb0ELb0EEvPKfS1_S1_S1_S1_S1_Pfllllllllllll15HIP_vector_typeIjLj3EES4_fi,@function
_Z20gated_delta_net_cudaILi16ELb0ELb0EEvPKfS1_S1_S1_S1_S1_Pfllllllllllll15HIP_vector_typeIjLj3EES4_fi: ; @_Z20gated_delta_net_cudaILi16ELb0ELb0EEvPKfS1_S1_S1_S1_S1_Pfllllllllllll15HIP_vector_typeIjLj3EES4_fi
; %bb.0:
	s_load_dword s0, s[4:5], 0xc4
	s_load_dwordx16 s[12:27], s[4:5], 0x0
	s_mov_b32 s1, 0
	s_load_dwordx16 s[36:51], s[4:5], 0x40
	s_waitcnt lgkmcnt(0)
	s_lshr_b32 s0, s0, 16
	s_mul_i32 s8, s8, s0
	s_mul_i32 s0, s27, s7
	s_mul_hi_u32 s2, s26, s7
	v_add_u32_e32 v3, s8, v1
	s_add_i32 s9, s2, s0
	s_mul_i32 s8, s26, s7
	s_lshl_b32 s0, s6, 8
	s_lshl_b64 s[2:3], s[8:9], 10
	v_lshlrev_b32_e32 v1, 4, v3
	s_add_u32 s2, s22, s2
	v_ashrrev_i32_e32 v2, 31, v1
	s_addc_u32 s3, s23, s3
	s_lshl_b64 s[0:1], s[0:1], 2
	s_add_u32 s0, s2, s0
	v_lshlrev_b64 v[4:5], 2, v[1:2]
	s_addc_u32 s1, s3, s1
	v_mov_b32_e32 v2, s1
	v_add_co_u32_e32 v4, vcc, s0, v4
	v_addc_co_u32_e32 v2, vcc, v2, v5, vcc
	v_lshlrev_b32_e32 v5, 2, v0
	v_add_co_u32_e32 v6, vcc, v4, v5
	v_addc_co_u32_e32 v7, vcc, 0, v2, vcc
	global_load_dword v6, v[6:7], off
	v_cmp_lt_i64_e64 s[0:1], s[36:37], 1
	v_mov_b32_e32 v7, 0
	s_and_b64 vcc, exec, s[0:1]
	s_cbranch_vccnz .LBB12_5
; %bb.1:
	s_load_dwordx4 s[0:3], s[4:5], 0x80
	s_load_dwordx2 s[10:11], s[4:5], 0x90
	s_load_dwordx4 s[52:55], s[4:5], 0x98
	s_load_dword s22, s[4:5], 0xa8
	s_load_dword s33, s[4:5], 0xb0
	s_mul_i32 s4, s8, s37
	s_mul_hi_u32 s5, s8, s36
	s_add_i32 s4, s5, s4
	s_mul_i32 s5, s9, s36
	s_add_i32 s5, s4, s5
	s_mul_i32 s4, s8, s36
	s_add_u32 s4, s4, s6
	s_addc_u32 s5, s5, 0
	s_lshl_b64 s[28:29], s[4:5], 6
	s_waitcnt lgkmcnt(0)
	s_mul_hi_u32 s4, s55, s7
	s_add_i32 s4, s7, s4
	s_lshr_b32 s22, s4, s22
	s_mul_hi_u32 s4, s52, s6
	s_add_i32 s4, s6, s4
	s_lshr_b32 s4, s4, s53
	s_mul_i32 s4, s4, s54
	v_mbcnt_lo_u32_b32 v2, -1, 0
	s_sub_i32 s23, s6, s4
	s_mul_i32 s4, s51, s7
	s_mul_hi_u32 s5, s50, s7
	v_mbcnt_hi_u32_b32 v2, -1, v2
	s_add_i32 s5, s5, s4
	s_mul_i32 s4, s50, s7
	v_and_b32_e32 v4, 0x70, v2
	s_lshl_b64 s[4:5], s[4:5], 2
	v_add_u32_e32 v4, 16, v4
	v_xor_b32_e32 v8, 8, v2
	s_add_u32 s16, s16, s4
	v_cmp_lt_i32_e32 vcc, v8, v4
	v_xor_b32_e32 v9, 4, v2
	s_addc_u32 s17, s17, s5
	s_mul_i32 s4, s47, s6
	s_mul_hi_u32 s5, s46, s6
	v_cndmask_b32_e32 v8, v2, v8, vcc
	v_cmp_lt_i32_e32 vcc, v9, v4
	v_xor_b32_e32 v10, 2, v2
	s_add_i32 s5, s5, s4
	s_mul_i32 s4, s46, s6
	v_cndmask_b32_e32 v9, v2, v9, vcc
	v_cmp_lt_i32_e32 vcc, v10, v4
	v_xor_b32_e32 v11, 1, v2
	s_lshl_b64 s[4:5], s[4:5], 2
	v_cndmask_b32_e32 v10, v2, v10, vcc
	v_cmp_lt_i32_e32 vcc, v11, v4
	v_ashrrev_i32_e32 v4, 31, v3
	s_add_u32 s4, s16, s4
	v_lshlrev_b64 v[14:15], 2, v[3:4]
	s_addc_u32 s5, s17, s5
	s_mul_i32 s11, s11, s7
	s_mul_hi_u32 s16, s10, s7
	s_mul_i32 s7, s10, s7
	s_mul_i32 s1, s1, s6
	s_mul_hi_u32 s10, s0, s6
	v_cndmask_b32_e32 v2, v2, v11, vcc
	s_add_i32 s17, s16, s11
	s_add_i32 s30, s10, s1
	v_lshlrev_b32_e32 v11, 2, v2
	v_mov_b32_e32 v3, s5
	v_add_co_u32_e32 v2, vcc, s4, v14
	s_mul_i32 s4, s45, s22
	s_mul_hi_u32 s5, s44, s22
	s_mul_i32 s10, s41, s23
	s_mul_hi_u32 s11, s40, s23
	s_add_i32 s5, s5, s4
	s_mul_i32 s4, s44, s22
	s_add_i32 s11, s11, s10
	s_mul_i32 s10, s40, s23
	s_lshl_b64 s[4:5], s[4:5], 2
	s_lshl_b64 s[10:11], s[10:11], 2
	s_add_u32 s4, s4, s10
	v_addc_co_u32_e32 v3, vcc, v3, v15, vcc
	s_addc_u32 s5, s5, s11
	s_mul_i32 s16, s0, s6
	v_mov_b32_e32 v4, s5
	v_add_co_u32_e32 v12, vcc, s4, v5
	s_lshl_b64 s[4:5], s[42:43], 2
	s_lshl_b64 s[10:11], s[48:49], 2
	s_add_u32 s16, s7, s16
	s_addc_u32 s17, s17, s30
	s_lshl_b64 s[16:17], s[16:17], 2
	s_lshl_b64 s[22:23], s[2:3], 2
	s_add_u32 s2, s24, s28
	v_addc_co_u32_e32 v13, vcc, 0, v4, vcc
	s_addc_u32 s3, s25, s29
	v_mov_b32_e32 v5, s3
	v_add_co_u32_e32 v4, vcc, s2, v14
	v_lshlrev_b32_e32 v8, 2, v8
	v_lshlrev_b32_e32 v9, 2, v9
	v_lshlrev_b32_e32 v10, 2, v10
	v_cmp_eq_u32_e64 s[0:1], 0, v0
	v_addc_co_u32_e32 v5, vcc, v5, v15, vcc
	s_lshl_b64 s[28:29], s[26:27], 6
	s_mov_b64 s[30:31], 0
	s_mov_b32 s7, 0x3fb8aa3b
	s_mov_b32 s34, 0xc2ce8ed0
	;; [unrolled: 1-line block ×3, first 2 shown]
	v_mov_b32_e32 v14, 0x7f800000
	s_branch .LBB12_3
.LBB12_2:                               ;   in Loop: Header=BB12_3 Depth=1
	s_or_b64 exec, exec, s[2:3]
	v_mov_b32_e32 v15, s5
	v_add_co_u32_e32 v12, vcc, s4, v12
	v_addc_co_u32_e32 v13, vcc, v13, v15, vcc
	s_add_u32 s30, s30, 1
	v_mov_b32_e32 v15, s11
	v_add_co_u32_e32 v2, vcc, s10, v2
	s_addc_u32 s31, s31, 0
	v_addc_co_u32_e32 v3, vcc, v3, v15, vcc
	s_waitcnt lgkmcnt(0)
	v_mov_b32_e32 v15, s30
	v_mov_b32_e32 v16, s31
	v_cmp_le_i64_e32 vcc, s[36:37], v[15:16]
	s_add_u32 s16, s16, s22
	v_mov_b32_e32 v17, s29
	v_add_co_u32_e64 v4, s[2:3], s28, v4
	s_addc_u32 s17, s17, s23
	v_addc_co_u32_e64 v5, s[2:3], v5, v17, s[2:3]
	s_cbranch_vccnz .LBB12_5
.LBB12_3:                               ; =>This Inner Loop Header: Depth=1
	v_add_co_u32_e32 v15, vcc, s14, v12
	v_mov_b32_e32 v16, s15
	s_add_u32 s2, s20, s16
	v_addc_co_u32_e32 v16, vcc, v16, v13, vcc
	s_addc_u32 s3, s21, s17
	global_load_dword v18, v[15:16], off
	v_add_co_u32_e32 v15, vcc, s12, v12
	v_mov_b32_e32 v16, s13
	s_add_u32 s40, s18, s16
	v_addc_co_u32_e32 v16, vcc, v16, v13, vcc
	s_addc_u32 s41, s19, s17
	global_load_dword v17, v7, s[2:3]
	global_load_dword v19, v[15:16], off
	global_load_dword v20, v7, s[40:41]
	s_waitcnt vmcnt(0)
	v_mul_f32_e32 v15, 0x3fb8aa3b, v20
	v_fma_f32 v16, v20, s7, -v15
	v_rndne_f32_e32 v21, v15
	v_fmac_f32_e32 v16, 0x32a5705f, v20
	v_sub_f32_e32 v15, v15, v21
	v_add_f32_e32 v15, v15, v16
	v_exp_f32_e32 v15, v15
	v_cvt_i32_f32_e32 v16, v21
	v_cmp_ngt_f32_e32 vcc, s34, v20
	v_ldexp_f32 v15, v15, v16
	v_fma_f32 v16, v6, v18, 0
	v_cndmask_b32_e32 v15, 0, v15, vcc
	v_cmp_nlt_f32_e32 vcc, s35, v20
	ds_bpermute_b32 v20, v8, v16
	v_cndmask_b32_e32 v15, v14, v15, vcc
	v_mul_f32_e32 v6, v15, v6
	s_waitcnt lgkmcnt(0)
	v_add_f32_e32 v16, v16, v20
	ds_bpermute_b32 v20, v9, v16
	s_waitcnt lgkmcnt(0)
	v_add_f32_e32 v16, v16, v20
	ds_bpermute_b32 v20, v10, v16
	;; [unrolled: 3-line block ×3, first 2 shown]
	s_waitcnt lgkmcnt(0)
	v_add_f32_e32 v16, v16, v20
	global_load_dword v20, v[2:3], off
	s_waitcnt vmcnt(0)
	v_fma_f32 v16, -v15, v16, v20
	v_mul_f32_e32 v16, v17, v16
	v_fmac_f32_e32 v6, v18, v16
	v_fma_f32 v15, v19, v6, 0
	ds_bpermute_b32 v16, v8, v15
	s_waitcnt lgkmcnt(0)
	v_add_f32_e32 v15, v15, v16
	ds_bpermute_b32 v16, v9, v15
	s_waitcnt lgkmcnt(0)
	v_add_f32_e32 v15, v15, v16
	;; [unrolled: 3-line block ×3, first 2 shown]
	ds_bpermute_b32 v16, v11, v15
	s_and_saveexec_b64 s[2:3], s[0:1]
	s_cbranch_execz .LBB12_2
; %bb.4:                                ;   in Loop: Header=BB12_3 Depth=1
	s_waitcnt lgkmcnt(0)
	v_add_f32_e32 v15, v15, v16
	v_mul_f32_e32 v15, s33, v15
	global_store_dword v[4:5], v15, off
	s_branch .LBB12_2
.LBB12_5:
	s_mul_i32 s0, s26, s37
	s_mul_hi_u32 s1, s26, s36
	s_add_i32 s0, s1, s0
	s_mul_i32 s1, s27, s36
	s_mul_i32 s2, s26, s36
	s_add_i32 s0, s0, s1
	s_mul_i32 s1, s2, s39
	s_mul_hi_u32 s3, s2, s38
	s_add_i32 s1, s3, s1
	s_mul_i32 s0, s0, s38
	s_add_i32 s1, s1, s0
	s_mul_i32 s0, s2, s38
	s_lshl_b64 s[0:1], s[0:1], 6
	s_add_u32 s2, s24, s0
	s_addc_u32 s3, s25, s1
	s_add_u32 s0, s8, s6
	s_addc_u32 s1, s9, 0
	v_add_u32_e32 v0, v1, v0
	s_lshl_b64 s[0:1], s[0:1], 10
	v_ashrrev_i32_e32 v1, 31, v0
	s_add_u32 s0, s2, s0
	v_lshlrev_b64 v[0:1], 2, v[0:1]
	s_addc_u32 s1, s3, s1
	v_mov_b32_e32 v2, s1
	v_add_co_u32_e32 v0, vcc, s0, v0
	v_addc_co_u32_e32 v1, vcc, v2, v1, vcc
	s_waitcnt vmcnt(0)
	global_store_dword v[0:1], v6, off
	s_endpgm
	.section	.rodata,"a",@progbits
	.p2align	6, 0x0
	.amdhsa_kernel _Z20gated_delta_net_cudaILi16ELb0ELb0EEvPKfS1_S1_S1_S1_S1_Pfllllllllllll15HIP_vector_typeIjLj3EES4_fi
		.amdhsa_group_segment_fixed_size 0
		.amdhsa_private_segment_fixed_size 0
		.amdhsa_kernarg_size 440
		.amdhsa_user_sgpr_count 6
		.amdhsa_user_sgpr_private_segment_buffer 1
		.amdhsa_user_sgpr_dispatch_ptr 0
		.amdhsa_user_sgpr_queue_ptr 0
		.amdhsa_user_sgpr_kernarg_segment_ptr 1
		.amdhsa_user_sgpr_dispatch_id 0
		.amdhsa_user_sgpr_flat_scratch_init 0
		.amdhsa_user_sgpr_private_segment_size 0
		.amdhsa_uses_dynamic_stack 0
		.amdhsa_system_sgpr_private_segment_wavefront_offset 0
		.amdhsa_system_sgpr_workgroup_id_x 1
		.amdhsa_system_sgpr_workgroup_id_y 1
		.amdhsa_system_sgpr_workgroup_id_z 1
		.amdhsa_system_sgpr_workgroup_info 0
		.amdhsa_system_vgpr_workitem_id 1
		.amdhsa_next_free_vgpr 22
		.amdhsa_next_free_sgpr 56
		.amdhsa_reserve_vcc 1
		.amdhsa_reserve_flat_scratch 0
		.amdhsa_float_round_mode_32 0
		.amdhsa_float_round_mode_16_64 0
		.amdhsa_float_denorm_mode_32 3
		.amdhsa_float_denorm_mode_16_64 3
		.amdhsa_dx10_clamp 1
		.amdhsa_ieee_mode 1
		.amdhsa_fp16_overflow 0
		.amdhsa_exception_fp_ieee_invalid_op 0
		.amdhsa_exception_fp_denorm_src 0
		.amdhsa_exception_fp_ieee_div_zero 0
		.amdhsa_exception_fp_ieee_overflow 0
		.amdhsa_exception_fp_ieee_underflow 0
		.amdhsa_exception_fp_ieee_inexact 0
		.amdhsa_exception_int_div_zero 0
	.end_amdhsa_kernel
	.section	.text._Z20gated_delta_net_cudaILi16ELb0ELb0EEvPKfS1_S1_S1_S1_S1_Pfllllllllllll15HIP_vector_typeIjLj3EES4_fi,"axG",@progbits,_Z20gated_delta_net_cudaILi16ELb0ELb0EEvPKfS1_S1_S1_S1_S1_Pfllllllllllll15HIP_vector_typeIjLj3EES4_fi,comdat
.Lfunc_end12:
	.size	_Z20gated_delta_net_cudaILi16ELb0ELb0EEvPKfS1_S1_S1_S1_S1_Pfllllllllllll15HIP_vector_typeIjLj3EES4_fi, .Lfunc_end12-_Z20gated_delta_net_cudaILi16ELb0ELb0EEvPKfS1_S1_S1_S1_S1_Pfllllllllllll15HIP_vector_typeIjLj3EES4_fi
                                        ; -- End function
	.set _Z20gated_delta_net_cudaILi16ELb0ELb0EEvPKfS1_S1_S1_S1_S1_Pfllllllllllll15HIP_vector_typeIjLj3EES4_fi.num_vgpr, 22
	.set _Z20gated_delta_net_cudaILi16ELb0ELb0EEvPKfS1_S1_S1_S1_S1_Pfllllllllllll15HIP_vector_typeIjLj3EES4_fi.num_agpr, 0
	.set _Z20gated_delta_net_cudaILi16ELb0ELb0EEvPKfS1_S1_S1_S1_S1_Pfllllllllllll15HIP_vector_typeIjLj3EES4_fi.numbered_sgpr, 56
	.set _Z20gated_delta_net_cudaILi16ELb0ELb0EEvPKfS1_S1_S1_S1_S1_Pfllllllllllll15HIP_vector_typeIjLj3EES4_fi.num_named_barrier, 0
	.set _Z20gated_delta_net_cudaILi16ELb0ELb0EEvPKfS1_S1_S1_S1_S1_Pfllllllllllll15HIP_vector_typeIjLj3EES4_fi.private_seg_size, 0
	.set _Z20gated_delta_net_cudaILi16ELb0ELb0EEvPKfS1_S1_S1_S1_S1_Pfllllllllllll15HIP_vector_typeIjLj3EES4_fi.uses_vcc, 1
	.set _Z20gated_delta_net_cudaILi16ELb0ELb0EEvPKfS1_S1_S1_S1_S1_Pfllllllllllll15HIP_vector_typeIjLj3EES4_fi.uses_flat_scratch, 0
	.set _Z20gated_delta_net_cudaILi16ELb0ELb0EEvPKfS1_S1_S1_S1_S1_Pfllllllllllll15HIP_vector_typeIjLj3EES4_fi.has_dyn_sized_stack, 0
	.set _Z20gated_delta_net_cudaILi16ELb0ELb0EEvPKfS1_S1_S1_S1_S1_Pfllllllllllll15HIP_vector_typeIjLj3EES4_fi.has_recursion, 0
	.set _Z20gated_delta_net_cudaILi16ELb0ELb0EEvPKfS1_S1_S1_S1_S1_Pfllllllllllll15HIP_vector_typeIjLj3EES4_fi.has_indirect_call, 0
	.section	.AMDGPU.csdata,"",@progbits
; Kernel info:
; codeLenInByte = 1180
; TotalNumSgprs: 60
; NumVgprs: 22
; ScratchSize: 0
; MemoryBound: 0
; FloatMode: 240
; IeeeMode: 1
; LDSByteSize: 0 bytes/workgroup (compile time only)
; SGPRBlocks: 7
; VGPRBlocks: 5
; NumSGPRsForWavesPerEU: 60
; NumVGPRsForWavesPerEU: 22
; Occupancy: 10
; WaveLimiterHint : 0
; COMPUTE_PGM_RSRC2:SCRATCH_EN: 0
; COMPUTE_PGM_RSRC2:USER_SGPR: 6
; COMPUTE_PGM_RSRC2:TRAP_HANDLER: 0
; COMPUTE_PGM_RSRC2:TGID_X_EN: 1
; COMPUTE_PGM_RSRC2:TGID_Y_EN: 1
; COMPUTE_PGM_RSRC2:TGID_Z_EN: 1
; COMPUTE_PGM_RSRC2:TIDIG_COMP_CNT: 1
	.section	.text._Z20gated_delta_net_cudaILi32ELb0ELb0EEvPKfS1_S1_S1_S1_S1_Pfllllllllllll15HIP_vector_typeIjLj3EES4_fi,"axG",@progbits,_Z20gated_delta_net_cudaILi32ELb0ELb0EEvPKfS1_S1_S1_S1_S1_Pfllllllllllll15HIP_vector_typeIjLj3EES4_fi,comdat
	.protected	_Z20gated_delta_net_cudaILi32ELb0ELb0EEvPKfS1_S1_S1_S1_S1_Pfllllllllllll15HIP_vector_typeIjLj3EES4_fi ; -- Begin function _Z20gated_delta_net_cudaILi32ELb0ELb0EEvPKfS1_S1_S1_S1_S1_Pfllllllllllll15HIP_vector_typeIjLj3EES4_fi
	.globl	_Z20gated_delta_net_cudaILi32ELb0ELb0EEvPKfS1_S1_S1_S1_S1_Pfllllllllllll15HIP_vector_typeIjLj3EES4_fi
	.p2align	8
	.type	_Z20gated_delta_net_cudaILi32ELb0ELb0EEvPKfS1_S1_S1_S1_S1_Pfllllllllllll15HIP_vector_typeIjLj3EES4_fi,@function
_Z20gated_delta_net_cudaILi32ELb0ELb0EEvPKfS1_S1_S1_S1_S1_Pfllllllllllll15HIP_vector_typeIjLj3EES4_fi: ; @_Z20gated_delta_net_cudaILi32ELb0ELb0EEvPKfS1_S1_S1_S1_S1_Pfllllllllllll15HIP_vector_typeIjLj3EES4_fi
; %bb.0:
	s_load_dword s0, s[4:5], 0xc4
	s_load_dwordx16 s[12:27], s[4:5], 0x0
	s_mov_b32 s1, 0
	s_load_dwordx16 s[36:51], s[4:5], 0x40
	s_waitcnt lgkmcnt(0)
	s_lshr_b32 s0, s0, 16
	s_mul_i32 s8, s8, s0
	s_mul_i32 s0, s27, s7
	s_mul_hi_u32 s2, s26, s7
	v_add_u32_e32 v3, s8, v1
	s_add_i32 s9, s2, s0
	s_mul_i32 s8, s26, s7
	s_lshl_b32 s0, s6, 10
	s_lshl_b64 s[2:3], s[8:9], 12
	v_lshlrev_b32_e32 v1, 5, v3
	s_add_u32 s2, s22, s2
	v_ashrrev_i32_e32 v2, 31, v1
	s_addc_u32 s3, s23, s3
	s_lshl_b64 s[0:1], s[0:1], 2
	s_add_u32 s0, s2, s0
	v_lshlrev_b64 v[4:5], 2, v[1:2]
	s_addc_u32 s1, s3, s1
	v_mov_b32_e32 v2, s1
	v_add_co_u32_e32 v4, vcc, s0, v4
	v_addc_co_u32_e32 v2, vcc, v2, v5, vcc
	v_lshlrev_b32_e32 v5, 2, v0
	v_add_co_u32_e32 v6, vcc, v4, v5
	v_addc_co_u32_e32 v7, vcc, 0, v2, vcc
	global_load_dword v6, v[6:7], off
	v_cmp_lt_i64_e64 s[0:1], s[36:37], 1
	v_mov_b32_e32 v7, 0
	s_and_b64 vcc, exec, s[0:1]
	s_cbranch_vccnz .LBB13_5
; %bb.1:
	s_load_dwordx4 s[0:3], s[4:5], 0x80
	s_load_dwordx2 s[10:11], s[4:5], 0x90
	s_load_dwordx4 s[52:55], s[4:5], 0x98
	s_load_dword s22, s[4:5], 0xa8
	s_load_dword s33, s[4:5], 0xb0
	s_mul_i32 s4, s8, s37
	s_mul_hi_u32 s5, s8, s36
	s_add_i32 s4, s5, s4
	s_mul_i32 s5, s9, s36
	s_add_i32 s5, s4, s5
	s_mul_i32 s4, s8, s36
	s_add_u32 s4, s4, s6
	s_addc_u32 s5, s5, 0
	s_lshl_b64 s[28:29], s[4:5], 7
	s_waitcnt lgkmcnt(0)
	s_mul_hi_u32 s4, s55, s7
	s_add_i32 s4, s7, s4
	s_lshr_b32 s22, s4, s22
	s_mul_hi_u32 s4, s52, s6
	s_add_i32 s4, s6, s4
	s_lshr_b32 s4, s4, s53
	v_mbcnt_lo_u32_b32 v2, -1, 0
	s_mul_i32 s4, s4, s54
	v_mbcnt_hi_u32_b32 v2, -1, v2
	s_sub_i32 s23, s6, s4
	s_mul_i32 s4, s51, s7
	s_mul_hi_u32 s5, s50, s7
	v_and_b32_e32 v4, 0x60, v2
	s_add_i32 s5, s5, s4
	s_mul_i32 s4, s50, s7
	v_add_u32_e32 v4, 32, v4
	v_xor_b32_e32 v8, 16, v2
	s_lshl_b64 s[4:5], s[4:5], 2
	v_cmp_lt_i32_e32 vcc, v8, v4
	v_xor_b32_e32 v9, 8, v2
	s_add_u32 s16, s16, s4
	v_cndmask_b32_e32 v8, v2, v8, vcc
	v_cmp_lt_i32_e32 vcc, v9, v4
	v_xor_b32_e32 v10, 4, v2
	s_addc_u32 s17, s17, s5
	s_mul_i32 s4, s47, s6
	s_mul_hi_u32 s5, s46, s6
	v_cndmask_b32_e32 v9, v2, v9, vcc
	v_cmp_lt_i32_e32 vcc, v10, v4
	v_xor_b32_e32 v11, 2, v2
	s_add_i32 s5, s5, s4
	s_mul_i32 s4, s46, s6
	v_cndmask_b32_e32 v10, v2, v10, vcc
	v_cmp_lt_i32_e32 vcc, v11, v4
	v_xor_b32_e32 v12, 1, v2
	s_lshl_b64 s[4:5], s[4:5], 2
	v_cndmask_b32_e32 v11, v2, v11, vcc
	v_cmp_lt_i32_e32 vcc, v12, v4
	v_ashrrev_i32_e32 v4, 31, v3
	s_add_u32 s4, s16, s4
	v_lshlrev_b64 v[15:16], 2, v[3:4]
	s_addc_u32 s5, s17, s5
	s_mul_i32 s11, s11, s7
	s_mul_hi_u32 s16, s10, s7
	s_mul_i32 s7, s10, s7
	s_mul_i32 s1, s1, s6
	s_mul_hi_u32 s10, s0, s6
	v_cndmask_b32_e32 v2, v2, v12, vcc
	s_add_i32 s17, s16, s11
	s_add_i32 s30, s10, s1
	v_lshlrev_b32_e32 v12, 2, v2
	v_mov_b32_e32 v3, s5
	v_add_co_u32_e32 v2, vcc, s4, v15
	s_mul_i32 s4, s45, s22
	s_mul_hi_u32 s5, s44, s22
	s_mul_i32 s10, s41, s23
	s_mul_hi_u32 s11, s40, s23
	s_add_i32 s5, s5, s4
	s_mul_i32 s4, s44, s22
	s_add_i32 s11, s11, s10
	s_mul_i32 s10, s40, s23
	s_lshl_b64 s[4:5], s[4:5], 2
	s_lshl_b64 s[10:11], s[10:11], 2
	s_add_u32 s4, s4, s10
	v_addc_co_u32_e32 v3, vcc, v3, v16, vcc
	s_addc_u32 s5, s5, s11
	s_mul_i32 s16, s0, s6
	v_mov_b32_e32 v4, s5
	v_add_co_u32_e32 v13, vcc, s4, v5
	s_lshl_b64 s[4:5], s[42:43], 2
	s_lshl_b64 s[10:11], s[48:49], 2
	s_add_u32 s16, s7, s16
	s_addc_u32 s17, s17, s30
	s_lshl_b64 s[16:17], s[16:17], 2
	s_lshl_b64 s[22:23], s[2:3], 2
	s_add_u32 s2, s24, s28
	v_addc_co_u32_e32 v14, vcc, 0, v4, vcc
	s_addc_u32 s3, s25, s29
	v_mov_b32_e32 v5, s3
	v_add_co_u32_e32 v4, vcc, s2, v15
	v_lshlrev_b32_e32 v8, 2, v8
	v_lshlrev_b32_e32 v9, 2, v9
	;; [unrolled: 1-line block ×4, first 2 shown]
	v_cmp_eq_u32_e64 s[0:1], 0, v0
	v_addc_co_u32_e32 v5, vcc, v5, v16, vcc
	s_lshl_b64 s[28:29], s[26:27], 7
	s_mov_b64 s[30:31], 0
	s_mov_b32 s7, 0x3fb8aa3b
	s_mov_b32 s34, 0xc2ce8ed0
	;; [unrolled: 1-line block ×3, first 2 shown]
	v_mov_b32_e32 v15, 0x7f800000
	s_branch .LBB13_3
.LBB13_2:                               ;   in Loop: Header=BB13_3 Depth=1
	s_or_b64 exec, exec, s[2:3]
	v_mov_b32_e32 v16, s5
	v_add_co_u32_e32 v13, vcc, s4, v13
	v_addc_co_u32_e32 v14, vcc, v14, v16, vcc
	s_add_u32 s30, s30, 1
	v_mov_b32_e32 v16, s11
	v_add_co_u32_e32 v2, vcc, s10, v2
	s_addc_u32 s31, s31, 0
	v_addc_co_u32_e32 v3, vcc, v3, v16, vcc
	s_waitcnt lgkmcnt(0)
	v_mov_b32_e32 v16, s30
	v_mov_b32_e32 v17, s31
	v_cmp_le_i64_e32 vcc, s[36:37], v[16:17]
	s_add_u32 s16, s16, s22
	v_mov_b32_e32 v18, s29
	v_add_co_u32_e64 v4, s[2:3], s28, v4
	s_addc_u32 s17, s17, s23
	v_addc_co_u32_e64 v5, s[2:3], v5, v18, s[2:3]
	s_cbranch_vccnz .LBB13_5
.LBB13_3:                               ; =>This Inner Loop Header: Depth=1
	v_add_co_u32_e32 v16, vcc, s14, v13
	v_mov_b32_e32 v17, s15
	s_add_u32 s2, s20, s16
	v_addc_co_u32_e32 v17, vcc, v17, v14, vcc
	s_addc_u32 s3, s21, s17
	global_load_dword v19, v[16:17], off
	v_add_co_u32_e32 v16, vcc, s12, v13
	v_mov_b32_e32 v17, s13
	s_add_u32 s40, s18, s16
	v_addc_co_u32_e32 v17, vcc, v17, v14, vcc
	s_addc_u32 s41, s19, s17
	global_load_dword v18, v7, s[2:3]
	global_load_dword v20, v[16:17], off
	global_load_dword v21, v7, s[40:41]
	s_waitcnt vmcnt(0)
	v_mul_f32_e32 v16, 0x3fb8aa3b, v21
	v_fma_f32 v17, v21, s7, -v16
	v_rndne_f32_e32 v22, v16
	v_fmac_f32_e32 v17, 0x32a5705f, v21
	v_sub_f32_e32 v16, v16, v22
	v_add_f32_e32 v16, v16, v17
	v_exp_f32_e32 v16, v16
	v_cvt_i32_f32_e32 v17, v22
	v_cmp_ngt_f32_e32 vcc, s34, v21
	v_ldexp_f32 v16, v16, v17
	v_fma_f32 v17, v6, v19, 0
	v_cndmask_b32_e32 v16, 0, v16, vcc
	v_cmp_nlt_f32_e32 vcc, s35, v21
	ds_bpermute_b32 v21, v8, v17
	v_cndmask_b32_e32 v16, v15, v16, vcc
	v_mul_f32_e32 v6, v16, v6
	s_waitcnt lgkmcnt(0)
	v_add_f32_e32 v17, v17, v21
	ds_bpermute_b32 v21, v9, v17
	s_waitcnt lgkmcnt(0)
	v_add_f32_e32 v17, v17, v21
	ds_bpermute_b32 v21, v10, v17
	;; [unrolled: 3-line block ×4, first 2 shown]
	s_waitcnt lgkmcnt(0)
	v_add_f32_e32 v17, v17, v21
	global_load_dword v21, v[2:3], off
	s_waitcnt vmcnt(0)
	v_fma_f32 v17, -v16, v17, v21
	v_mul_f32_e32 v17, v18, v17
	v_fmac_f32_e32 v6, v19, v17
	v_fma_f32 v16, v20, v6, 0
	ds_bpermute_b32 v17, v8, v16
	s_waitcnt lgkmcnt(0)
	v_add_f32_e32 v16, v16, v17
	ds_bpermute_b32 v17, v9, v16
	s_waitcnt lgkmcnt(0)
	v_add_f32_e32 v16, v16, v17
	;; [unrolled: 3-line block ×4, first 2 shown]
	ds_bpermute_b32 v17, v12, v16
	s_and_saveexec_b64 s[2:3], s[0:1]
	s_cbranch_execz .LBB13_2
; %bb.4:                                ;   in Loop: Header=BB13_3 Depth=1
	s_waitcnt lgkmcnt(0)
	v_add_f32_e32 v16, v16, v17
	v_mul_f32_e32 v16, s33, v16
	global_store_dword v[4:5], v16, off
	s_branch .LBB13_2
.LBB13_5:
	s_mul_i32 s0, s26, s37
	s_mul_hi_u32 s1, s26, s36
	s_add_i32 s0, s1, s0
	s_mul_i32 s1, s27, s36
	s_mul_i32 s2, s26, s36
	s_add_i32 s0, s0, s1
	s_mul_i32 s1, s2, s39
	s_mul_hi_u32 s3, s2, s38
	s_add_i32 s1, s3, s1
	s_mul_i32 s0, s0, s38
	s_add_i32 s1, s1, s0
	s_mul_i32 s0, s2, s38
	s_lshl_b64 s[0:1], s[0:1], 7
	s_add_u32 s2, s24, s0
	s_addc_u32 s3, s25, s1
	s_add_u32 s0, s8, s6
	s_addc_u32 s1, s9, 0
	v_add_u32_e32 v0, v1, v0
	s_lshl_b64 s[0:1], s[0:1], 12
	v_ashrrev_i32_e32 v1, 31, v0
	s_add_u32 s0, s2, s0
	v_lshlrev_b64 v[0:1], 2, v[0:1]
	s_addc_u32 s1, s3, s1
	v_mov_b32_e32 v2, s1
	v_add_co_u32_e32 v0, vcc, s0, v0
	v_addc_co_u32_e32 v1, vcc, v2, v1, vcc
	s_waitcnt vmcnt(0)
	global_store_dword v[0:1], v6, off
	s_endpgm
	.section	.rodata,"a",@progbits
	.p2align	6, 0x0
	.amdhsa_kernel _Z20gated_delta_net_cudaILi32ELb0ELb0EEvPKfS1_S1_S1_S1_S1_Pfllllllllllll15HIP_vector_typeIjLj3EES4_fi
		.amdhsa_group_segment_fixed_size 0
		.amdhsa_private_segment_fixed_size 0
		.amdhsa_kernarg_size 440
		.amdhsa_user_sgpr_count 6
		.amdhsa_user_sgpr_private_segment_buffer 1
		.amdhsa_user_sgpr_dispatch_ptr 0
		.amdhsa_user_sgpr_queue_ptr 0
		.amdhsa_user_sgpr_kernarg_segment_ptr 1
		.amdhsa_user_sgpr_dispatch_id 0
		.amdhsa_user_sgpr_flat_scratch_init 0
		.amdhsa_user_sgpr_private_segment_size 0
		.amdhsa_uses_dynamic_stack 0
		.amdhsa_system_sgpr_private_segment_wavefront_offset 0
		.amdhsa_system_sgpr_workgroup_id_x 1
		.amdhsa_system_sgpr_workgroup_id_y 1
		.amdhsa_system_sgpr_workgroup_id_z 1
		.amdhsa_system_sgpr_workgroup_info 0
		.amdhsa_system_vgpr_workitem_id 1
		.amdhsa_next_free_vgpr 23
		.amdhsa_next_free_sgpr 56
		.amdhsa_reserve_vcc 1
		.amdhsa_reserve_flat_scratch 0
		.amdhsa_float_round_mode_32 0
		.amdhsa_float_round_mode_16_64 0
		.amdhsa_float_denorm_mode_32 3
		.amdhsa_float_denorm_mode_16_64 3
		.amdhsa_dx10_clamp 1
		.amdhsa_ieee_mode 1
		.amdhsa_fp16_overflow 0
		.amdhsa_exception_fp_ieee_invalid_op 0
		.amdhsa_exception_fp_denorm_src 0
		.amdhsa_exception_fp_ieee_div_zero 0
		.amdhsa_exception_fp_ieee_overflow 0
		.amdhsa_exception_fp_ieee_underflow 0
		.amdhsa_exception_fp_ieee_inexact 0
		.amdhsa_exception_int_div_zero 0
	.end_amdhsa_kernel
	.section	.text._Z20gated_delta_net_cudaILi32ELb0ELb0EEvPKfS1_S1_S1_S1_S1_Pfllllllllllll15HIP_vector_typeIjLj3EES4_fi,"axG",@progbits,_Z20gated_delta_net_cudaILi32ELb0ELb0EEvPKfS1_S1_S1_S1_S1_Pfllllllllllll15HIP_vector_typeIjLj3EES4_fi,comdat
.Lfunc_end13:
	.size	_Z20gated_delta_net_cudaILi32ELb0ELb0EEvPKfS1_S1_S1_S1_S1_Pfllllllllllll15HIP_vector_typeIjLj3EES4_fi, .Lfunc_end13-_Z20gated_delta_net_cudaILi32ELb0ELb0EEvPKfS1_S1_S1_S1_S1_Pfllllllllllll15HIP_vector_typeIjLj3EES4_fi
                                        ; -- End function
	.set _Z20gated_delta_net_cudaILi32ELb0ELb0EEvPKfS1_S1_S1_S1_S1_Pfllllllllllll15HIP_vector_typeIjLj3EES4_fi.num_vgpr, 23
	.set _Z20gated_delta_net_cudaILi32ELb0ELb0EEvPKfS1_S1_S1_S1_S1_Pfllllllllllll15HIP_vector_typeIjLj3EES4_fi.num_agpr, 0
	.set _Z20gated_delta_net_cudaILi32ELb0ELb0EEvPKfS1_S1_S1_S1_S1_Pfllllllllllll15HIP_vector_typeIjLj3EES4_fi.numbered_sgpr, 56
	.set _Z20gated_delta_net_cudaILi32ELb0ELb0EEvPKfS1_S1_S1_S1_S1_Pfllllllllllll15HIP_vector_typeIjLj3EES4_fi.num_named_barrier, 0
	.set _Z20gated_delta_net_cudaILi32ELb0ELb0EEvPKfS1_S1_S1_S1_S1_Pfllllllllllll15HIP_vector_typeIjLj3EES4_fi.private_seg_size, 0
	.set _Z20gated_delta_net_cudaILi32ELb0ELb0EEvPKfS1_S1_S1_S1_S1_Pfllllllllllll15HIP_vector_typeIjLj3EES4_fi.uses_vcc, 1
	.set _Z20gated_delta_net_cudaILi32ELb0ELb0EEvPKfS1_S1_S1_S1_S1_Pfllllllllllll15HIP_vector_typeIjLj3EES4_fi.uses_flat_scratch, 0
	.set _Z20gated_delta_net_cudaILi32ELb0ELb0EEvPKfS1_S1_S1_S1_S1_Pfllllllllllll15HIP_vector_typeIjLj3EES4_fi.has_dyn_sized_stack, 0
	.set _Z20gated_delta_net_cudaILi32ELb0ELb0EEvPKfS1_S1_S1_S1_S1_Pfllllllllllll15HIP_vector_typeIjLj3EES4_fi.has_recursion, 0
	.set _Z20gated_delta_net_cudaILi32ELb0ELb0EEvPKfS1_S1_S1_S1_S1_Pfllllllllllll15HIP_vector_typeIjLj3EES4_fi.has_indirect_call, 0
	.section	.AMDGPU.csdata,"",@progbits
; Kernel info:
; codeLenInByte = 1228
; TotalNumSgprs: 60
; NumVgprs: 23
; ScratchSize: 0
; MemoryBound: 0
; FloatMode: 240
; IeeeMode: 1
; LDSByteSize: 0 bytes/workgroup (compile time only)
; SGPRBlocks: 7
; VGPRBlocks: 5
; NumSGPRsForWavesPerEU: 60
; NumVGPRsForWavesPerEU: 23
; Occupancy: 10
; WaveLimiterHint : 0
; COMPUTE_PGM_RSRC2:SCRATCH_EN: 0
; COMPUTE_PGM_RSRC2:USER_SGPR: 6
; COMPUTE_PGM_RSRC2:TRAP_HANDLER: 0
; COMPUTE_PGM_RSRC2:TGID_X_EN: 1
; COMPUTE_PGM_RSRC2:TGID_Y_EN: 1
; COMPUTE_PGM_RSRC2:TGID_Z_EN: 1
; COMPUTE_PGM_RSRC2:TIDIG_COMP_CNT: 1
	.section	.text._Z20gated_delta_net_cudaILi64ELb0ELb0EEvPKfS1_S1_S1_S1_S1_Pfllllllllllll15HIP_vector_typeIjLj3EES4_fi,"axG",@progbits,_Z20gated_delta_net_cudaILi64ELb0ELb0EEvPKfS1_S1_S1_S1_S1_Pfllllllllllll15HIP_vector_typeIjLj3EES4_fi,comdat
	.protected	_Z20gated_delta_net_cudaILi64ELb0ELb0EEvPKfS1_S1_S1_S1_S1_Pfllllllllllll15HIP_vector_typeIjLj3EES4_fi ; -- Begin function _Z20gated_delta_net_cudaILi64ELb0ELb0EEvPKfS1_S1_S1_S1_S1_Pfllllllllllll15HIP_vector_typeIjLj3EES4_fi
	.globl	_Z20gated_delta_net_cudaILi64ELb0ELb0EEvPKfS1_S1_S1_S1_S1_Pfllllllllllll15HIP_vector_typeIjLj3EES4_fi
	.p2align	8
	.type	_Z20gated_delta_net_cudaILi64ELb0ELb0EEvPKfS1_S1_S1_S1_S1_Pfllllllllllll15HIP_vector_typeIjLj3EES4_fi,@function
_Z20gated_delta_net_cudaILi64ELb0ELb0EEvPKfS1_S1_S1_S1_S1_Pfllllllllllll15HIP_vector_typeIjLj3EES4_fi: ; @_Z20gated_delta_net_cudaILi64ELb0ELb0EEvPKfS1_S1_S1_S1_S1_Pfllllllllllll15HIP_vector_typeIjLj3EES4_fi
; %bb.0:
	s_load_dword s0, s[4:5], 0xc4
	s_load_dwordx16 s[12:27], s[4:5], 0x0
	s_mov_b32 s1, 0
	s_load_dwordx16 s[36:51], s[4:5], 0x40
	s_waitcnt lgkmcnt(0)
	s_lshr_b32 s0, s0, 16
	s_mul_i32 s8, s8, s0
	s_mul_i32 s0, s27, s7
	s_mul_hi_u32 s2, s26, s7
	v_add_u32_e32 v3, s8, v1
	s_add_i32 s9, s2, s0
	s_mul_i32 s8, s26, s7
	s_lshl_b32 s0, s6, 12
	s_lshl_b64 s[2:3], s[8:9], 14
	v_lshlrev_b32_e32 v1, 6, v3
	s_add_u32 s2, s22, s2
	v_ashrrev_i32_e32 v2, 31, v1
	s_addc_u32 s3, s23, s3
	s_lshl_b64 s[0:1], s[0:1], 2
	s_add_u32 s0, s2, s0
	v_lshlrev_b64 v[4:5], 2, v[1:2]
	s_addc_u32 s1, s3, s1
	v_mov_b32_e32 v2, s1
	v_add_co_u32_e32 v4, vcc, s0, v4
	v_addc_co_u32_e32 v2, vcc, v2, v5, vcc
	v_lshlrev_b32_e32 v5, 2, v0
	v_add_co_u32_e32 v6, vcc, v4, v5
	v_addc_co_u32_e32 v7, vcc, 0, v2, vcc
	global_load_dword v6, v[6:7], off
	v_cmp_lt_i64_e64 s[0:1], s[36:37], 1
	v_mov_b32_e32 v7, 0
	s_and_b64 vcc, exec, s[0:1]
	s_cbranch_vccnz .LBB14_5
; %bb.1:
	s_load_dwordx4 s[0:3], s[4:5], 0x80
	s_load_dwordx2 s[10:11], s[4:5], 0x90
	s_load_dwordx4 s[52:55], s[4:5], 0x98
	s_load_dword s22, s[4:5], 0xa8
	s_load_dword s33, s[4:5], 0xb0
	s_mul_i32 s4, s8, s37
	s_mul_hi_u32 s5, s8, s36
	s_add_i32 s4, s5, s4
	s_mul_i32 s5, s9, s36
	s_add_i32 s5, s4, s5
	s_mul_i32 s4, s8, s36
	s_add_u32 s4, s4, s6
	s_addc_u32 s5, s5, 0
	s_lshl_b64 s[28:29], s[4:5], 8
	s_waitcnt lgkmcnt(0)
	s_mul_hi_u32 s4, s55, s7
	s_add_i32 s4, s7, s4
	s_lshr_b32 s22, s4, s22
	s_mul_hi_u32 s4, s52, s6
	s_add_i32 s4, s6, s4
	v_mbcnt_lo_u32_b32 v2, -1, 0
	s_lshr_b32 s4, s4, s53
	v_mbcnt_hi_u32_b32 v2, -1, v2
	s_mul_i32 s4, s4, s54
	v_and_b32_e32 v4, 64, v2
	s_sub_i32 s23, s6, s4
	s_mul_i32 s4, s51, s7
	s_mul_hi_u32 s5, s50, s7
	v_add_u32_e32 v4, 64, v4
	v_xor_b32_e32 v8, 32, v2
	s_add_i32 s5, s5, s4
	s_mul_i32 s4, s50, s7
	v_cmp_lt_i32_e32 vcc, v8, v4
	v_xor_b32_e32 v9, 16, v2
	s_lshl_b64 s[4:5], s[4:5], 2
	v_cndmask_b32_e32 v8, v2, v8, vcc
	v_cmp_lt_i32_e32 vcc, v9, v4
	v_xor_b32_e32 v10, 8, v2
	s_add_u32 s16, s16, s4
	v_cndmask_b32_e32 v9, v2, v9, vcc
	v_cmp_lt_i32_e32 vcc, v10, v4
	v_xor_b32_e32 v11, 4, v2
	s_addc_u32 s17, s17, s5
	s_mul_i32 s4, s47, s6
	s_mul_hi_u32 s5, s46, s6
	v_cndmask_b32_e32 v10, v2, v10, vcc
	v_cmp_lt_i32_e32 vcc, v11, v4
	v_xor_b32_e32 v12, 2, v2
	s_add_i32 s5, s5, s4
	s_mul_i32 s4, s46, s6
	v_cndmask_b32_e32 v11, v2, v11, vcc
	v_cmp_lt_i32_e32 vcc, v12, v4
	v_xor_b32_e32 v13, 1, v2
	s_lshl_b64 s[4:5], s[4:5], 2
	v_cndmask_b32_e32 v12, v2, v12, vcc
	v_cmp_lt_i32_e32 vcc, v13, v4
	v_ashrrev_i32_e32 v4, 31, v3
	s_add_u32 s4, s16, s4
	v_lshlrev_b64 v[16:17], 2, v[3:4]
	s_addc_u32 s5, s17, s5
	s_mul_i32 s11, s11, s7
	s_mul_hi_u32 s16, s10, s7
	s_mul_i32 s7, s10, s7
	s_mul_i32 s1, s1, s6
	s_mul_hi_u32 s10, s0, s6
	v_cndmask_b32_e32 v2, v2, v13, vcc
	s_add_i32 s17, s16, s11
	s_add_i32 s30, s10, s1
	v_lshlrev_b32_e32 v13, 2, v2
	v_mov_b32_e32 v3, s5
	v_add_co_u32_e32 v2, vcc, s4, v16
	s_mul_i32 s4, s45, s22
	s_mul_hi_u32 s5, s44, s22
	s_mul_i32 s10, s41, s23
	s_mul_hi_u32 s11, s40, s23
	s_add_i32 s5, s5, s4
	s_mul_i32 s4, s44, s22
	s_add_i32 s11, s11, s10
	s_mul_i32 s10, s40, s23
	s_lshl_b64 s[4:5], s[4:5], 2
	s_lshl_b64 s[10:11], s[10:11], 2
	s_add_u32 s4, s4, s10
	v_addc_co_u32_e32 v3, vcc, v3, v17, vcc
	s_addc_u32 s5, s5, s11
	s_mul_i32 s16, s0, s6
	v_mov_b32_e32 v4, s5
	v_add_co_u32_e32 v14, vcc, s4, v5
	s_lshl_b64 s[4:5], s[42:43], 2
	s_lshl_b64 s[10:11], s[48:49], 2
	s_add_u32 s16, s7, s16
	s_addc_u32 s17, s17, s30
	s_lshl_b64 s[16:17], s[16:17], 2
	s_lshl_b64 s[22:23], s[2:3], 2
	s_add_u32 s2, s24, s28
	v_addc_co_u32_e32 v15, vcc, 0, v4, vcc
	s_addc_u32 s3, s25, s29
	v_mov_b32_e32 v5, s3
	v_add_co_u32_e32 v4, vcc, s2, v16
	v_lshlrev_b32_e32 v8, 2, v8
	v_lshlrev_b32_e32 v9, 2, v9
	;; [unrolled: 1-line block ×5, first 2 shown]
	v_cmp_eq_u32_e64 s[0:1], 0, v0
	v_addc_co_u32_e32 v5, vcc, v5, v17, vcc
	s_lshl_b64 s[28:29], s[26:27], 8
	s_mov_b64 s[30:31], 0
	s_mov_b32 s7, 0x3fb8aa3b
	s_mov_b32 s34, 0xc2ce8ed0
	;; [unrolled: 1-line block ×3, first 2 shown]
	v_mov_b32_e32 v16, 0x7f800000
	s_branch .LBB14_3
.LBB14_2:                               ;   in Loop: Header=BB14_3 Depth=1
	s_or_b64 exec, exec, s[2:3]
	v_mov_b32_e32 v17, s5
	v_add_co_u32_e32 v14, vcc, s4, v14
	v_addc_co_u32_e32 v15, vcc, v15, v17, vcc
	s_add_u32 s30, s30, 1
	v_mov_b32_e32 v17, s11
	v_add_co_u32_e32 v2, vcc, s10, v2
	s_addc_u32 s31, s31, 0
	v_addc_co_u32_e32 v3, vcc, v3, v17, vcc
	s_waitcnt lgkmcnt(0)
	v_mov_b32_e32 v17, s30
	v_mov_b32_e32 v18, s31
	v_cmp_le_i64_e32 vcc, s[36:37], v[17:18]
	s_add_u32 s16, s16, s22
	v_mov_b32_e32 v19, s29
	v_add_co_u32_e64 v4, s[2:3], s28, v4
	s_addc_u32 s17, s17, s23
	v_addc_co_u32_e64 v5, s[2:3], v5, v19, s[2:3]
	s_cbranch_vccnz .LBB14_5
.LBB14_3:                               ; =>This Inner Loop Header: Depth=1
	s_add_u32 s40, s20, s16
	s_addc_u32 s41, s21, s17
	v_mov_b32_e32 v18, s15
	v_add_co_u32_e32 v17, vcc, s14, v14
	s_add_u32 s2, s18, s16
	v_addc_co_u32_e32 v18, vcc, v18, v15, vcc
	s_addc_u32 s3, s19, s17
	global_load_dword v17, v[17:18], off
	s_nop 0
	global_load_dword v18, v7, s[2:3]
	s_waitcnt vmcnt(0)
	v_mul_f32_e32 v19, 0x3fb8aa3b, v18
	v_fma_f32 v20, v18, s7, -v19
	v_cmp_ngt_f32_e32 vcc, s34, v18
	v_cmp_nlt_f32_e64 s[2:3], s35, v18
	v_fmac_f32_e32 v20, 0x32a5705f, v18
	v_rndne_f32_e32 v18, v19
	v_sub_f32_e32 v19, v19, v18
	v_add_f32_e32 v19, v19, v20
	v_fma_f32 v20, v6, v17, 0
	ds_bpermute_b32 v21, v8, v20
	v_cvt_i32_f32_e32 v18, v18
	v_exp_f32_e32 v19, v19
	s_waitcnt lgkmcnt(0)
	v_add_f32_e32 v20, v20, v21
	v_ldexp_f32 v18, v19, v18
	ds_bpermute_b32 v19, v9, v20
	v_cndmask_b32_e32 v18, 0, v18, vcc
	v_cndmask_b32_e64 v18, v16, v18, s[2:3]
	v_mul_f32_e32 v6, v18, v6
	s_waitcnt lgkmcnt(0)
	v_add_f32_e32 v19, v20, v19
	ds_bpermute_b32 v20, v10, v19
	s_waitcnt lgkmcnt(0)
	v_add_f32_e32 v19, v19, v20
	ds_bpermute_b32 v20, v11, v19
	;; [unrolled: 3-line block ×4, first 2 shown]
	s_waitcnt lgkmcnt(0)
	v_add_f32_e32 v19, v19, v20
	global_load_dword v20, v[2:3], off
	s_waitcnt vmcnt(0)
	v_fma_f32 v19, -v18, v19, v20
	global_load_dword v18, v7, s[40:41]
	s_waitcnt vmcnt(0)
	v_mul_f32_e32 v18, v18, v19
	v_fmac_f32_e32 v6, v17, v18
	v_mov_b32_e32 v18, s13
	v_add_co_u32_e32 v17, vcc, s12, v14
	v_addc_co_u32_e32 v18, vcc, v18, v15, vcc
	global_load_dword v17, v[17:18], off
	s_waitcnt vmcnt(0)
	v_fma_f32 v17, v17, v6, 0
	ds_bpermute_b32 v18, v8, v17
	s_waitcnt lgkmcnt(0)
	v_add_f32_e32 v17, v17, v18
	ds_bpermute_b32 v18, v9, v17
	s_waitcnt lgkmcnt(0)
	v_add_f32_e32 v17, v17, v18
	;; [unrolled: 3-line block ×5, first 2 shown]
	ds_bpermute_b32 v18, v13, v17
	s_and_saveexec_b64 s[2:3], s[0:1]
	s_cbranch_execz .LBB14_2
; %bb.4:                                ;   in Loop: Header=BB14_3 Depth=1
	s_waitcnt lgkmcnt(0)
	v_add_f32_e32 v17, v17, v18
	v_mul_f32_e32 v17, s33, v17
	global_store_dword v[4:5], v17, off
	s_branch .LBB14_2
.LBB14_5:
	s_mul_i32 s0, s26, s37
	s_mul_hi_u32 s1, s26, s36
	s_add_i32 s0, s1, s0
	s_mul_i32 s1, s27, s36
	s_mul_i32 s2, s26, s36
	s_add_i32 s0, s0, s1
	s_mul_i32 s1, s2, s39
	s_mul_hi_u32 s3, s2, s38
	s_add_i32 s1, s3, s1
	s_mul_i32 s0, s0, s38
	s_add_i32 s1, s1, s0
	s_mul_i32 s0, s2, s38
	s_lshl_b64 s[0:1], s[0:1], 8
	s_add_u32 s2, s24, s0
	s_addc_u32 s3, s25, s1
	s_add_u32 s0, s8, s6
	s_addc_u32 s1, s9, 0
	v_add_u32_e32 v0, v1, v0
	s_lshl_b64 s[0:1], s[0:1], 14
	v_ashrrev_i32_e32 v1, 31, v0
	s_add_u32 s0, s2, s0
	v_lshlrev_b64 v[0:1], 2, v[0:1]
	s_addc_u32 s1, s3, s1
	v_mov_b32_e32 v2, s1
	v_add_co_u32_e32 v0, vcc, s0, v0
	v_addc_co_u32_e32 v1, vcc, v2, v1, vcc
	s_waitcnt vmcnt(0)
	global_store_dword v[0:1], v6, off
	s_endpgm
	.section	.rodata,"a",@progbits
	.p2align	6, 0x0
	.amdhsa_kernel _Z20gated_delta_net_cudaILi64ELb0ELb0EEvPKfS1_S1_S1_S1_S1_Pfllllllllllll15HIP_vector_typeIjLj3EES4_fi
		.amdhsa_group_segment_fixed_size 0
		.amdhsa_private_segment_fixed_size 0
		.amdhsa_kernarg_size 440
		.amdhsa_user_sgpr_count 6
		.amdhsa_user_sgpr_private_segment_buffer 1
		.amdhsa_user_sgpr_dispatch_ptr 0
		.amdhsa_user_sgpr_queue_ptr 0
		.amdhsa_user_sgpr_kernarg_segment_ptr 1
		.amdhsa_user_sgpr_dispatch_id 0
		.amdhsa_user_sgpr_flat_scratch_init 0
		.amdhsa_user_sgpr_private_segment_size 0
		.amdhsa_uses_dynamic_stack 0
		.amdhsa_system_sgpr_private_segment_wavefront_offset 0
		.amdhsa_system_sgpr_workgroup_id_x 1
		.amdhsa_system_sgpr_workgroup_id_y 1
		.amdhsa_system_sgpr_workgroup_id_z 1
		.amdhsa_system_sgpr_workgroup_info 0
		.amdhsa_system_vgpr_workitem_id 1
		.amdhsa_next_free_vgpr 22
		.amdhsa_next_free_sgpr 56
		.amdhsa_reserve_vcc 1
		.amdhsa_reserve_flat_scratch 0
		.amdhsa_float_round_mode_32 0
		.amdhsa_float_round_mode_16_64 0
		.amdhsa_float_denorm_mode_32 3
		.amdhsa_float_denorm_mode_16_64 3
		.amdhsa_dx10_clamp 1
		.amdhsa_ieee_mode 1
		.amdhsa_fp16_overflow 0
		.amdhsa_exception_fp_ieee_invalid_op 0
		.amdhsa_exception_fp_denorm_src 0
		.amdhsa_exception_fp_ieee_div_zero 0
		.amdhsa_exception_fp_ieee_overflow 0
		.amdhsa_exception_fp_ieee_underflow 0
		.amdhsa_exception_fp_ieee_inexact 0
		.amdhsa_exception_int_div_zero 0
	.end_amdhsa_kernel
	.section	.text._Z20gated_delta_net_cudaILi64ELb0ELb0EEvPKfS1_S1_S1_S1_S1_Pfllllllllllll15HIP_vector_typeIjLj3EES4_fi,"axG",@progbits,_Z20gated_delta_net_cudaILi64ELb0ELb0EEvPKfS1_S1_S1_S1_S1_Pfllllllllllll15HIP_vector_typeIjLj3EES4_fi,comdat
.Lfunc_end14:
	.size	_Z20gated_delta_net_cudaILi64ELb0ELb0EEvPKfS1_S1_S1_S1_S1_Pfllllllllllll15HIP_vector_typeIjLj3EES4_fi, .Lfunc_end14-_Z20gated_delta_net_cudaILi64ELb0ELb0EEvPKfS1_S1_S1_S1_S1_Pfllllllllllll15HIP_vector_typeIjLj3EES4_fi
                                        ; -- End function
	.set _Z20gated_delta_net_cudaILi64ELb0ELb0EEvPKfS1_S1_S1_S1_S1_Pfllllllllllll15HIP_vector_typeIjLj3EES4_fi.num_vgpr, 22
	.set _Z20gated_delta_net_cudaILi64ELb0ELb0EEvPKfS1_S1_S1_S1_S1_Pfllllllllllll15HIP_vector_typeIjLj3EES4_fi.num_agpr, 0
	.set _Z20gated_delta_net_cudaILi64ELb0ELb0EEvPKfS1_S1_S1_S1_S1_Pfllllllllllll15HIP_vector_typeIjLj3EES4_fi.numbered_sgpr, 56
	.set _Z20gated_delta_net_cudaILi64ELb0ELb0EEvPKfS1_S1_S1_S1_S1_Pfllllllllllll15HIP_vector_typeIjLj3EES4_fi.num_named_barrier, 0
	.set _Z20gated_delta_net_cudaILi64ELb0ELb0EEvPKfS1_S1_S1_S1_S1_Pfllllllllllll15HIP_vector_typeIjLj3EES4_fi.private_seg_size, 0
	.set _Z20gated_delta_net_cudaILi64ELb0ELb0EEvPKfS1_S1_S1_S1_S1_Pfllllllllllll15HIP_vector_typeIjLj3EES4_fi.uses_vcc, 1
	.set _Z20gated_delta_net_cudaILi64ELb0ELb0EEvPKfS1_S1_S1_S1_S1_Pfllllllllllll15HIP_vector_typeIjLj3EES4_fi.uses_flat_scratch, 0
	.set _Z20gated_delta_net_cudaILi64ELb0ELb0EEvPKfS1_S1_S1_S1_S1_Pfllllllllllll15HIP_vector_typeIjLj3EES4_fi.has_dyn_sized_stack, 0
	.set _Z20gated_delta_net_cudaILi64ELb0ELb0EEvPKfS1_S1_S1_S1_S1_Pfllllllllllll15HIP_vector_typeIjLj3EES4_fi.has_recursion, 0
	.set _Z20gated_delta_net_cudaILi64ELb0ELb0EEvPKfS1_S1_S1_S1_S1_Pfllllllllllll15HIP_vector_typeIjLj3EES4_fi.has_indirect_call, 0
	.section	.AMDGPU.csdata,"",@progbits
; Kernel info:
; codeLenInByte = 1292
; TotalNumSgprs: 60
; NumVgprs: 22
; ScratchSize: 0
; MemoryBound: 0
; FloatMode: 240
; IeeeMode: 1
; LDSByteSize: 0 bytes/workgroup (compile time only)
; SGPRBlocks: 7
; VGPRBlocks: 5
; NumSGPRsForWavesPerEU: 60
; NumVGPRsForWavesPerEU: 22
; Occupancy: 10
; WaveLimiterHint : 0
; COMPUTE_PGM_RSRC2:SCRATCH_EN: 0
; COMPUTE_PGM_RSRC2:USER_SGPR: 6
; COMPUTE_PGM_RSRC2:TRAP_HANDLER: 0
; COMPUTE_PGM_RSRC2:TGID_X_EN: 1
; COMPUTE_PGM_RSRC2:TGID_Y_EN: 1
; COMPUTE_PGM_RSRC2:TGID_Z_EN: 1
; COMPUTE_PGM_RSRC2:TIDIG_COMP_CNT: 1
	.section	.text._Z20gated_delta_net_cudaILi128ELb0ELb0EEvPKfS1_S1_S1_S1_S1_Pfllllllllllll15HIP_vector_typeIjLj3EES4_fi,"axG",@progbits,_Z20gated_delta_net_cudaILi128ELb0ELb0EEvPKfS1_S1_S1_S1_S1_Pfllllllllllll15HIP_vector_typeIjLj3EES4_fi,comdat
	.protected	_Z20gated_delta_net_cudaILi128ELb0ELb0EEvPKfS1_S1_S1_S1_S1_Pfllllllllllll15HIP_vector_typeIjLj3EES4_fi ; -- Begin function _Z20gated_delta_net_cudaILi128ELb0ELb0EEvPKfS1_S1_S1_S1_S1_Pfllllllllllll15HIP_vector_typeIjLj3EES4_fi
	.globl	_Z20gated_delta_net_cudaILi128ELb0ELb0EEvPKfS1_S1_S1_S1_S1_Pfllllllllllll15HIP_vector_typeIjLj3EES4_fi
	.p2align	8
	.type	_Z20gated_delta_net_cudaILi128ELb0ELb0EEvPKfS1_S1_S1_S1_S1_Pfllllllllllll15HIP_vector_typeIjLj3EES4_fi,@function
_Z20gated_delta_net_cudaILi128ELb0ELb0EEvPKfS1_S1_S1_S1_S1_Pfllllllllllll15HIP_vector_typeIjLj3EES4_fi: ; @_Z20gated_delta_net_cudaILi128ELb0ELb0EEvPKfS1_S1_S1_S1_S1_Pfllllllllllll15HIP_vector_typeIjLj3EES4_fi
; %bb.0:
	s_load_dword s0, s[4:5], 0xc4
	s_load_dwordx16 s[12:27], s[4:5], 0x0
	s_mov_b32 s1, 0
	v_lshlrev_b32_e32 v8, 2, v0
	s_load_dwordx16 s[36:51], s[4:5], 0x40
	s_waitcnt lgkmcnt(0)
	s_lshr_b32 s0, s0, 16
	s_mul_i32 s8, s8, s0
	s_mul_i32 s0, s27, s7
	s_mul_hi_u32 s2, s26, s7
	v_add_u32_e32 v3, s8, v1
	s_add_i32 s9, s2, s0
	s_mul_i32 s8, s26, s7
	s_lshl_b32 s0, s6, 14
	s_lshl_b64 s[2:3], s[8:9], 16
	v_lshlrev_b32_e32 v1, 7, v3
	s_add_u32 s2, s22, s2
	v_ashrrev_i32_e32 v2, 31, v1
	s_addc_u32 s3, s23, s3
	s_lshl_b64 s[0:1], s[0:1], 2
	s_add_u32 s0, s2, s0
	v_lshlrev_b64 v[4:5], 2, v[1:2]
	s_addc_u32 s1, s3, s1
	v_mov_b32_e32 v2, s1
	v_add_co_u32_e32 v4, vcc, s0, v4
	v_addc_co_u32_e32 v2, vcc, v2, v5, vcc
	v_add_co_u32_e32 v4, vcc, v4, v8
	v_addc_co_u32_e32 v5, vcc, 0, v2, vcc
	global_load_dword v6, v[4:5], off
	global_load_dword v7, v[4:5], off offset:256
	v_cmp_lt_i64_e64 s[0:1], s[36:37], 1
	v_mov_b32_e32 v9, 0
	s_and_b64 vcc, exec, s[0:1]
	s_cbranch_vccnz .LBB15_5
; %bb.1:
	v_mbcnt_lo_u32_b32 v2, -1, 0
	v_mbcnt_hi_u32_b32 v2, -1, v2
	s_load_dwordx4 s[0:3], s[4:5], 0x80
	s_load_dwordx2 s[10:11], s[4:5], 0x90
	s_load_dwordx4 s[52:55], s[4:5], 0x98
	s_load_dword s22, s[4:5], 0xa8
	s_load_dword s28, s[4:5], 0xb0
	s_mul_i32 s4, s8, s37
	s_mul_hi_u32 s5, s8, s36
	v_and_b32_e32 v4, 64, v2
	s_add_i32 s4, s5, s4
	s_mul_i32 s5, s9, s36
	v_add_u32_e32 v4, 64, v4
	v_xor_b32_e32 v5, 32, v2
	s_add_i32 s5, s4, s5
	s_mul_i32 s4, s8, s36
	v_cmp_lt_i32_e32 vcc, v5, v4
	s_add_u32 s4, s4, s6
	s_waitcnt lgkmcnt(0)
	s_mul_hi_u32 s23, s55, s7
	v_cndmask_b32_e32 v5, v2, v5, vcc
	s_addc_u32 s5, s5, 0
	s_add_i32 s23, s7, s23
	v_lshlrev_b32_e32 v10, 2, v5
	v_xor_b32_e32 v5, 16, v2
	s_lshr_b32 s29, s23, s22
	s_mul_hi_u32 s22, s52, s6
	v_cmp_lt_i32_e32 vcc, v5, v4
	s_add_i32 s22, s6, s22
	v_cndmask_b32_e32 v5, v2, v5, vcc
	s_lshr_b32 s22, s22, s53
	v_lshlrev_b32_e32 v11, 2, v5
	v_xor_b32_e32 v5, 8, v2
	s_mul_i32 s22, s22, s54
	v_cmp_lt_i32_e32 vcc, v5, v4
	s_sub_i32 s30, s6, s22
	s_mul_i32 s22, s51, s7
	s_mul_hi_u32 s23, s50, s7
	v_cndmask_b32_e32 v5, v2, v5, vcc
	s_add_i32 s23, s23, s22
	s_mul_i32 s22, s50, s7
	v_lshlrev_b32_e32 v12, 2, v5
	v_xor_b32_e32 v5, 4, v2
	s_lshl_b64 s[4:5], s[4:5], 9
	s_lshl_b64 s[22:23], s[22:23], 2
	v_cmp_lt_i32_e32 vcc, v5, v4
	s_add_u32 s22, s16, s22
	v_cndmask_b32_e32 v5, v2, v5, vcc
	s_addc_u32 s23, s17, s23
	s_mul_i32 s16, s47, s6
	s_mul_hi_u32 s17, s46, s6
	v_lshlrev_b32_e32 v13, 2, v5
	v_xor_b32_e32 v5, 2, v2
	s_add_i32 s17, s17, s16
	s_mul_i32 s16, s46, s6
	v_cmp_lt_i32_e32 vcc, v5, v4
	s_lshl_b64 s[16:17], s[16:17], 2
	v_cndmask_b32_e32 v5, v2, v5, vcc
	s_add_u32 s16, s22, s16
	v_lshlrev_b32_e32 v14, 2, v5
	v_xor_b32_e32 v5, 1, v2
	s_addc_u32 s17, s23, s17
	s_mul_i32 s11, s11, s7
	s_mul_hi_u32 s22, s10, s7
	s_mul_i32 s23, s10, s7
	s_mul_i32 s1, s1, s6
	s_mul_hi_u32 s7, s0, s6
	v_cmp_lt_i32_e32 vcc, v5, v4
	v_ashrrev_i32_e32 v4, 31, v3
	s_add_i32 s22, s22, s11
	s_add_i32 s31, s7, s1
	v_cndmask_b32_e32 v2, v2, v5, vcc
	v_lshlrev_b64 v[4:5], 2, v[3:4]
	s_add_u32 s4, s24, s4
	s_mul_i32 s7, s45, s29
	s_mul_hi_u32 s10, s44, s29
	v_lshlrev_b32_e32 v15, 2, v2
	v_mov_b32_e32 v3, s17
	v_add_co_u32_e32 v2, vcc, s16, v4
	s_addc_u32 s5, s25, s5
	s_add_i32 s11, s10, s7
	s_mul_i32 s7, s41, s30
	s_mul_hi_u32 s16, s40, s30
	v_addc_co_u32_e32 v3, vcc, v3, v5, vcc
	s_mul_i32 s10, s44, s29
	s_add_i32 s17, s16, s7
	s_mul_i32 s16, s40, s30
	v_mov_b32_e32 v16, s5
	v_add_co_u32_e32 v4, vcc, s4, v4
	s_lshl_b64 s[4:5], s[26:27], 9
	s_lshl_b64 s[10:11], s[10:11], 2
	;; [unrolled: 1-line block ×3, first 2 shown]
	s_add_u32 s7, s10, s16
	s_addc_u32 s10, s11, s17
	s_add_u32 s30, s7, 0x100
	s_addc_u32 s34, s10, 0
	s_add_u32 s7, s12, s30
	s_mul_i32 s33, s0, s6
	s_addc_u32 s29, s13, s34
	s_lshl_b64 s[10:11], s[42:43], 2
	s_add_u32 s12, s23, s33
	s_addc_u32 s13, s22, s31
	s_lshl_b64 s[12:13], s[12:13], 2
	s_lshl_b64 s[16:17], s[2:3], 2
	s_add_u32 s30, s14, s30
	v_cmp_eq_u32_e64 s[0:1], 0, v0
	v_addc_co_u32_e32 v5, vcc, v16, v5, vcc
	s_addc_u32 s31, s15, s34
	s_lshl_b64 s[14:15], s[48:49], 2
	s_mov_b64 s[22:23], 0
	s_mov_b32 s33, 0x3fb8aa3b
	s_mov_b32 s34, 0xc2ce8ed0
	;; [unrolled: 1-line block ×3, first 2 shown]
	v_mov_b32_e32 v16, 0x7f800000
	s_branch .LBB15_3
.LBB15_2:                               ;   in Loop: Header=BB15_3 Depth=1
	s_or_b64 exec, exec, s[2:3]
	s_add_u32 s22, s22, 1
	s_addc_u32 s23, s23, 0
	v_mov_b32_e32 v17, s5
	v_add_co_u32_e32 v4, vcc, s4, v4
	s_add_u32 s7, s7, s10
	v_addc_co_u32_e32 v5, vcc, v5, v17, vcc
	s_addc_u32 s29, s29, s11
	s_waitcnt lgkmcnt(0)
	v_mov_b32_e32 v17, s22
	s_add_u32 s12, s12, s16
	v_mov_b32_e32 v18, s23
	s_addc_u32 s13, s13, s17
	v_cmp_le_i64_e32 vcc, s[36:37], v[17:18]
	s_add_u32 s30, s30, s10
	v_mov_b32_e32 v19, s15
	v_add_co_u32_e64 v2, s[2:3], s14, v2
	s_addc_u32 s31, s31, s11
	v_addc_co_u32_e64 v3, s[2:3], v3, v19, s[2:3]
	s_cbranch_vccnz .LBB15_5
.LBB15_3:                               ; =>This Inner Loop Header: Depth=1
	s_add_u32 s40, s20, s12
	s_addc_u32 s41, s21, s13
	v_mov_b32_e32 v18, s31
	v_add_co_u32_e32 v17, vcc, s30, v8
	s_add_u32 s2, s18, s12
	v_addc_co_u32_e32 v18, vcc, 0, v18, vcc
	s_addc_u32 s3, s19, s13
	global_load_dword v19, v[17:18], off offset:-256
	global_load_dword v20, v[17:18], off
	s_waitcnt vmcnt(2)
	v_mov_b32_e32 v22, v7
	global_load_dword v17, v9, s[2:3]
	s_waitcnt vmcnt(0)
	v_mul_f32_e32 v18, 0x3fb8aa3b, v17
	v_fma_f32 v21, v17, s33, -v18
	v_cmp_ngt_f32_e32 vcc, s34, v17
	v_cmp_nlt_f32_e64 s[2:3], s35, v17
	v_fmac_f32_e32 v21, 0x32a5705f, v17
	v_rndne_f32_e32 v17, v18
	v_sub_f32_e32 v18, v18, v17
	v_add_f32_e32 v18, v18, v21
	v_mov_b32_e32 v21, v6
	v_fma_f32 v6, v21, v19, 0
	v_fmac_f32_e32 v6, v22, v20
	ds_bpermute_b32 v7, v10, v6
	s_waitcnt lgkmcnt(0)
	v_add_f32_e32 v6, v6, v7
	v_cvt_i32_f32_e32 v7, v17
	v_exp_f32_e32 v17, v18
	v_mov_b32_e32 v18, s29
	v_ldexp_f32 v7, v17, v7
	ds_bpermute_b32 v17, v11, v6
	v_cndmask_b32_e32 v7, 0, v7, vcc
	s_waitcnt lgkmcnt(0)
	v_add_f32_e32 v6, v6, v17
	ds_bpermute_b32 v17, v12, v6
	s_waitcnt lgkmcnt(0)
	v_add_f32_e32 v6, v6, v17
	ds_bpermute_b32 v17, v13, v6
	;; [unrolled: 3-line block ×4, first 2 shown]
	s_waitcnt lgkmcnt(0)
	v_add_f32_e32 v6, v6, v17
	v_cndmask_b32_e64 v17, v16, v7, s[2:3]
	global_load_dword v7, v[2:3], off
	s_waitcnt vmcnt(0)
	v_fma_f32 v6, -v17, v6, v7
	global_load_dword v7, v9, s[40:41]
	s_waitcnt vmcnt(0)
	v_mul_f32_e32 v7, v7, v6
	v_mul_f32_e32 v6, v7, v19
	;; [unrolled: 1-line block ×3, first 2 shown]
	v_fmac_f32_e32 v6, v17, v21
	v_fmac_f32_e32 v7, v17, v22
	v_add_co_u32_e32 v17, vcc, s7, v8
	v_addc_co_u32_e32 v18, vcc, 0, v18, vcc
	global_load_dword v19, v[17:18], off offset:-256
	global_load_dword v20, v[17:18], off
	s_waitcnt vmcnt(1)
	v_fma_f32 v17, v19, v6, 0
	s_waitcnt vmcnt(0)
	v_fmac_f32_e32 v17, v20, v7
	ds_bpermute_b32 v18, v10, v17
	s_waitcnt lgkmcnt(0)
	v_add_f32_e32 v17, v17, v18
	ds_bpermute_b32 v18, v11, v17
	s_waitcnt lgkmcnt(0)
	v_add_f32_e32 v17, v17, v18
	;; [unrolled: 3-line block ×5, first 2 shown]
	ds_bpermute_b32 v18, v15, v17
	s_and_saveexec_b64 s[2:3], s[0:1]
	s_cbranch_execz .LBB15_2
; %bb.4:                                ;   in Loop: Header=BB15_3 Depth=1
	s_waitcnt lgkmcnt(0)
	v_add_f32_e32 v17, v17, v18
	v_mul_f32_e32 v17, s28, v17
	global_store_dword v[4:5], v17, off
	s_branch .LBB15_2
.LBB15_5:
	s_mul_i32 s0, s26, s37
	s_mul_hi_u32 s1, s26, s36
	s_add_i32 s0, s1, s0
	s_mul_i32 s1, s27, s36
	s_mul_i32 s2, s26, s36
	s_add_i32 s0, s0, s1
	s_mul_i32 s1, s2, s39
	s_mul_hi_u32 s3, s2, s38
	s_add_i32 s1, s3, s1
	s_mul_i32 s0, s0, s38
	s_add_i32 s1, s1, s0
	s_mul_i32 s0, s2, s38
	s_lshl_b64 s[0:1], s[0:1], 9
	s_add_u32 s2, s24, s0
	s_addc_u32 s3, s25, s1
	s_add_u32 s0, s8, s6
	s_addc_u32 s1, s9, 0
	v_add_u32_e32 v0, v1, v0
	s_lshl_b64 s[0:1], s[0:1], 16
	v_ashrrev_i32_e32 v1, 31, v0
	s_add_u32 s0, s2, s0
	v_lshlrev_b64 v[0:1], 2, v[0:1]
	s_addc_u32 s1, s3, s1
	v_mov_b32_e32 v2, s1
	v_add_co_u32_e32 v0, vcc, s0, v0
	v_addc_co_u32_e32 v1, vcc, v2, v1, vcc
	s_waitcnt vmcnt(1)
	global_store_dword v[0:1], v6, off
	s_waitcnt vmcnt(1)
	global_store_dword v[0:1], v7, off offset:256
	s_endpgm
	.section	.rodata,"a",@progbits
	.p2align	6, 0x0
	.amdhsa_kernel _Z20gated_delta_net_cudaILi128ELb0ELb0EEvPKfS1_S1_S1_S1_S1_Pfllllllllllll15HIP_vector_typeIjLj3EES4_fi
		.amdhsa_group_segment_fixed_size 0
		.amdhsa_private_segment_fixed_size 0
		.amdhsa_kernarg_size 440
		.amdhsa_user_sgpr_count 6
		.amdhsa_user_sgpr_private_segment_buffer 1
		.amdhsa_user_sgpr_dispatch_ptr 0
		.amdhsa_user_sgpr_queue_ptr 0
		.amdhsa_user_sgpr_kernarg_segment_ptr 1
		.amdhsa_user_sgpr_dispatch_id 0
		.amdhsa_user_sgpr_flat_scratch_init 0
		.amdhsa_user_sgpr_private_segment_size 0
		.amdhsa_uses_dynamic_stack 0
		.amdhsa_system_sgpr_private_segment_wavefront_offset 0
		.amdhsa_system_sgpr_workgroup_id_x 1
		.amdhsa_system_sgpr_workgroup_id_y 1
		.amdhsa_system_sgpr_workgroup_id_z 1
		.amdhsa_system_sgpr_workgroup_info 0
		.amdhsa_system_vgpr_workitem_id 1
		.amdhsa_next_free_vgpr 23
		.amdhsa_next_free_sgpr 56
		.amdhsa_reserve_vcc 1
		.amdhsa_reserve_flat_scratch 0
		.amdhsa_float_round_mode_32 0
		.amdhsa_float_round_mode_16_64 0
		.amdhsa_float_denorm_mode_32 3
		.amdhsa_float_denorm_mode_16_64 3
		.amdhsa_dx10_clamp 1
		.amdhsa_ieee_mode 1
		.amdhsa_fp16_overflow 0
		.amdhsa_exception_fp_ieee_invalid_op 0
		.amdhsa_exception_fp_denorm_src 0
		.amdhsa_exception_fp_ieee_div_zero 0
		.amdhsa_exception_fp_ieee_overflow 0
		.amdhsa_exception_fp_ieee_underflow 0
		.amdhsa_exception_fp_ieee_inexact 0
		.amdhsa_exception_int_div_zero 0
	.end_amdhsa_kernel
	.section	.text._Z20gated_delta_net_cudaILi128ELb0ELb0EEvPKfS1_S1_S1_S1_S1_Pfllllllllllll15HIP_vector_typeIjLj3EES4_fi,"axG",@progbits,_Z20gated_delta_net_cudaILi128ELb0ELb0EEvPKfS1_S1_S1_S1_S1_Pfllllllllllll15HIP_vector_typeIjLj3EES4_fi,comdat
.Lfunc_end15:
	.size	_Z20gated_delta_net_cudaILi128ELb0ELb0EEvPKfS1_S1_S1_S1_S1_Pfllllllllllll15HIP_vector_typeIjLj3EES4_fi, .Lfunc_end15-_Z20gated_delta_net_cudaILi128ELb0ELb0EEvPKfS1_S1_S1_S1_S1_Pfllllllllllll15HIP_vector_typeIjLj3EES4_fi
                                        ; -- End function
	.set _Z20gated_delta_net_cudaILi128ELb0ELb0EEvPKfS1_S1_S1_S1_S1_Pfllllllllllll15HIP_vector_typeIjLj3EES4_fi.num_vgpr, 23
	.set _Z20gated_delta_net_cudaILi128ELb0ELb0EEvPKfS1_S1_S1_S1_S1_Pfllllllllllll15HIP_vector_typeIjLj3EES4_fi.num_agpr, 0
	.set _Z20gated_delta_net_cudaILi128ELb0ELb0EEvPKfS1_S1_S1_S1_S1_Pfllllllllllll15HIP_vector_typeIjLj3EES4_fi.numbered_sgpr, 56
	.set _Z20gated_delta_net_cudaILi128ELb0ELb0EEvPKfS1_S1_S1_S1_S1_Pfllllllllllll15HIP_vector_typeIjLj3EES4_fi.num_named_barrier, 0
	.set _Z20gated_delta_net_cudaILi128ELb0ELb0EEvPKfS1_S1_S1_S1_S1_Pfllllllllllll15HIP_vector_typeIjLj3EES4_fi.private_seg_size, 0
	.set _Z20gated_delta_net_cudaILi128ELb0ELb0EEvPKfS1_S1_S1_S1_S1_Pfllllllllllll15HIP_vector_typeIjLj3EES4_fi.uses_vcc, 1
	.set _Z20gated_delta_net_cudaILi128ELb0ELb0EEvPKfS1_S1_S1_S1_S1_Pfllllllllllll15HIP_vector_typeIjLj3EES4_fi.uses_flat_scratch, 0
	.set _Z20gated_delta_net_cudaILi128ELb0ELb0EEvPKfS1_S1_S1_S1_S1_Pfllllllllllll15HIP_vector_typeIjLj3EES4_fi.has_dyn_sized_stack, 0
	.set _Z20gated_delta_net_cudaILi128ELb0ELb0EEvPKfS1_S1_S1_S1_S1_Pfllllllllllll15HIP_vector_typeIjLj3EES4_fi.has_recursion, 0
	.set _Z20gated_delta_net_cudaILi128ELb0ELb0EEvPKfS1_S1_S1_S1_S1_Pfllllllllllll15HIP_vector_typeIjLj3EES4_fi.has_indirect_call, 0
	.section	.AMDGPU.csdata,"",@progbits
; Kernel info:
; codeLenInByte = 1376
; TotalNumSgprs: 60
; NumVgprs: 23
; ScratchSize: 0
; MemoryBound: 0
; FloatMode: 240
; IeeeMode: 1
; LDSByteSize: 0 bytes/workgroup (compile time only)
; SGPRBlocks: 7
; VGPRBlocks: 5
; NumSGPRsForWavesPerEU: 60
; NumVGPRsForWavesPerEU: 23
; Occupancy: 10
; WaveLimiterHint : 1
; COMPUTE_PGM_RSRC2:SCRATCH_EN: 0
; COMPUTE_PGM_RSRC2:USER_SGPR: 6
; COMPUTE_PGM_RSRC2:TRAP_HANDLER: 0
; COMPUTE_PGM_RSRC2:TGID_X_EN: 1
; COMPUTE_PGM_RSRC2:TGID_Y_EN: 1
; COMPUTE_PGM_RSRC2:TGID_Z_EN: 1
; COMPUTE_PGM_RSRC2:TIDIG_COMP_CNT: 1
	.section	.AMDGPU.gpr_maximums,"",@progbits
	.set amdgpu.max_num_vgpr, 0
	.set amdgpu.max_num_agpr, 0
	.set amdgpu.max_num_sgpr, 0
	.section	.AMDGPU.csdata,"",@progbits
	.type	__hip_cuid_8952b0fc91b9bb06,@object ; @__hip_cuid_8952b0fc91b9bb06
	.section	.bss,"aw",@nobits
	.globl	__hip_cuid_8952b0fc91b9bb06
__hip_cuid_8952b0fc91b9bb06:
	.byte	0                               ; 0x0
	.size	__hip_cuid_8952b0fc91b9bb06, 1

	.ident	"AMD clang version 22.0.0git (https://github.com/RadeonOpenCompute/llvm-project roc-7.2.4 26084 f58b06dce1f9c15707c5f808fd002e18c2accf7e)"
	.section	".note.GNU-stack","",@progbits
	.addrsig
	.addrsig_sym __hip_cuid_8952b0fc91b9bb06
	.amdgpu_metadata
---
amdhsa.kernels:
  - .args:
      - .address_space:  global
        .offset:         0
        .size:           8
        .value_kind:     global_buffer
      - .address_space:  global
        .offset:         8
        .size:           8
        .value_kind:     global_buffer
      - .address_space:  global
        .offset:         16
        .size:           8
        .value_kind:     global_buffer
      - .address_space:  global
        .offset:         24
        .size:           8
        .value_kind:     global_buffer
      - .address_space:  global
        .offset:         32
        .size:           8
        .value_kind:     global_buffer
      - .address_space:  global
        .offset:         40
        .size:           8
        .value_kind:     global_buffer
      - .address_space:  global
        .offset:         48
        .size:           8
        .value_kind:     global_buffer
      - .offset:         56
        .size:           8
        .value_kind:     by_value
      - .offset:         64
        .size:           8
        .value_kind:     by_value
      - .offset:         72
        .size:           8
        .value_kind:     by_value
      - .offset:         80
        .size:           8
        .value_kind:     by_value
      - .offset:         88
        .size:           8
        .value_kind:     by_value
      - .offset:         96
        .size:           8
        .value_kind:     by_value
      - .offset:         104
        .size:           8
        .value_kind:     by_value
      - .offset:         112
        .size:           8
        .value_kind:     by_value
      - .offset:         120
        .size:           8
        .value_kind:     by_value
      - .offset:         128
        .size:           8
        .value_kind:     by_value
      - .offset:         136
        .size:           8
        .value_kind:     by_value
      - .offset:         144
        .size:           8
        .value_kind:     by_value
      - .offset:         152
        .size:           12
        .value_kind:     by_value
      - .offset:         164
        .size:           12
        .value_kind:     by_value
      - .offset:         176
        .size:           4
        .value_kind:     by_value
      - .offset:         180
        .size:           4
        .value_kind:     by_value
      - .offset:         184
        .size:           4
        .value_kind:     hidden_block_count_x
      - .offset:         188
        .size:           4
        .value_kind:     hidden_block_count_y
      - .offset:         192
        .size:           4
        .value_kind:     hidden_block_count_z
      - .offset:         196
        .size:           2
        .value_kind:     hidden_group_size_x
      - .offset:         198
        .size:           2
        .value_kind:     hidden_group_size_y
      - .offset:         200
        .size:           2
        .value_kind:     hidden_group_size_z
      - .offset:         202
        .size:           2
        .value_kind:     hidden_remainder_x
      - .offset:         204
        .size:           2
        .value_kind:     hidden_remainder_y
      - .offset:         206
        .size:           2
        .value_kind:     hidden_remainder_z
      - .offset:         224
        .size:           8
        .value_kind:     hidden_global_offset_x
      - .offset:         232
        .size:           8
        .value_kind:     hidden_global_offset_y
      - .offset:         240
        .size:           8
        .value_kind:     hidden_global_offset_z
      - .offset:         248
        .size:           2
        .value_kind:     hidden_grid_dims
    .group_segment_fixed_size: 0
    .kernarg_segment_align: 8
    .kernarg_segment_size: 440
    .language:       OpenCL C
    .language_version:
      - 2
      - 0
    .max_flat_workgroup_size: 64
    .name:           _Z20gated_delta_net_cudaILi16ELb1ELb1EEvPKfS1_S1_S1_S1_S1_Pfllllllllllll15HIP_vector_typeIjLj3EES4_fi
    .private_segment_fixed_size: 0
    .sgpr_count:     60
    .sgpr_spill_count: 0
    .symbol:         _Z20gated_delta_net_cudaILi16ELb1ELb1EEvPKfS1_S1_S1_S1_S1_Pfllllllllllll15HIP_vector_typeIjLj3EES4_fi.kd
    .uniform_work_group_size: 1
    .uses_dynamic_stack: false
    .vgpr_count:     21
    .vgpr_spill_count: 0
    .wavefront_size: 64
  - .args:
      - .address_space:  global
        .offset:         0
        .size:           8
        .value_kind:     global_buffer
      - .address_space:  global
        .offset:         8
        .size:           8
        .value_kind:     global_buffer
      - .address_space:  global
        .offset:         16
        .size:           8
        .value_kind:     global_buffer
      - .address_space:  global
        .offset:         24
        .size:           8
        .value_kind:     global_buffer
      - .address_space:  global
        .offset:         32
        .size:           8
        .value_kind:     global_buffer
      - .address_space:  global
        .offset:         40
        .size:           8
        .value_kind:     global_buffer
      - .address_space:  global
        .offset:         48
        .size:           8
        .value_kind:     global_buffer
      - .offset:         56
        .size:           8
        .value_kind:     by_value
      - .offset:         64
        .size:           8
        .value_kind:     by_value
      - .offset:         72
        .size:           8
        .value_kind:     by_value
      - .offset:         80
        .size:           8
        .value_kind:     by_value
      - .offset:         88
        .size:           8
        .value_kind:     by_value
      - .offset:         96
        .size:           8
        .value_kind:     by_value
      - .offset:         104
        .size:           8
        .value_kind:     by_value
      - .offset:         112
        .size:           8
        .value_kind:     by_value
      - .offset:         120
        .size:           8
        .value_kind:     by_value
      - .offset:         128
        .size:           8
        .value_kind:     by_value
      - .offset:         136
        .size:           8
        .value_kind:     by_value
      - .offset:         144
        .size:           8
        .value_kind:     by_value
      - .offset:         152
        .size:           12
        .value_kind:     by_value
      - .offset:         164
        .size:           12
        .value_kind:     by_value
      - .offset:         176
        .size:           4
        .value_kind:     by_value
      - .offset:         180
        .size:           4
        .value_kind:     by_value
      - .offset:         184
        .size:           4
        .value_kind:     hidden_block_count_x
      - .offset:         188
        .size:           4
        .value_kind:     hidden_block_count_y
      - .offset:         192
        .size:           4
        .value_kind:     hidden_block_count_z
      - .offset:         196
        .size:           2
        .value_kind:     hidden_group_size_x
      - .offset:         198
        .size:           2
        .value_kind:     hidden_group_size_y
      - .offset:         200
        .size:           2
        .value_kind:     hidden_group_size_z
      - .offset:         202
        .size:           2
        .value_kind:     hidden_remainder_x
      - .offset:         204
        .size:           2
        .value_kind:     hidden_remainder_y
      - .offset:         206
        .size:           2
        .value_kind:     hidden_remainder_z
      - .offset:         224
        .size:           8
        .value_kind:     hidden_global_offset_x
      - .offset:         232
        .size:           8
        .value_kind:     hidden_global_offset_y
      - .offset:         240
        .size:           8
        .value_kind:     hidden_global_offset_z
      - .offset:         248
        .size:           2
        .value_kind:     hidden_grid_dims
    .group_segment_fixed_size: 0
    .kernarg_segment_align: 8
    .kernarg_segment_size: 440
    .language:       OpenCL C
    .language_version:
      - 2
      - 0
    .max_flat_workgroup_size: 128
    .name:           _Z20gated_delta_net_cudaILi32ELb1ELb1EEvPKfS1_S1_S1_S1_S1_Pfllllllllllll15HIP_vector_typeIjLj3EES4_fi
    .private_segment_fixed_size: 0
    .sgpr_count:     60
    .sgpr_spill_count: 0
    .symbol:         _Z20gated_delta_net_cudaILi32ELb1ELb1EEvPKfS1_S1_S1_S1_S1_Pfllllllllllll15HIP_vector_typeIjLj3EES4_fi.kd
    .uniform_work_group_size: 1
    .uses_dynamic_stack: false
    .vgpr_count:     22
    .vgpr_spill_count: 0
    .wavefront_size: 64
  - .args:
      - .address_space:  global
        .offset:         0
        .size:           8
        .value_kind:     global_buffer
      - .address_space:  global
        .offset:         8
        .size:           8
        .value_kind:     global_buffer
      - .address_space:  global
        .offset:         16
        .size:           8
        .value_kind:     global_buffer
      - .address_space:  global
        .offset:         24
        .size:           8
        .value_kind:     global_buffer
      - .address_space:  global
        .offset:         32
        .size:           8
        .value_kind:     global_buffer
      - .address_space:  global
        .offset:         40
        .size:           8
        .value_kind:     global_buffer
      - .address_space:  global
        .offset:         48
        .size:           8
        .value_kind:     global_buffer
      - .offset:         56
        .size:           8
        .value_kind:     by_value
      - .offset:         64
        .size:           8
        .value_kind:     by_value
      - .offset:         72
        .size:           8
        .value_kind:     by_value
      - .offset:         80
        .size:           8
        .value_kind:     by_value
      - .offset:         88
        .size:           8
        .value_kind:     by_value
      - .offset:         96
        .size:           8
        .value_kind:     by_value
      - .offset:         104
        .size:           8
        .value_kind:     by_value
      - .offset:         112
        .size:           8
        .value_kind:     by_value
      - .offset:         120
        .size:           8
        .value_kind:     by_value
      - .offset:         128
        .size:           8
        .value_kind:     by_value
      - .offset:         136
        .size:           8
        .value_kind:     by_value
      - .offset:         144
        .size:           8
        .value_kind:     by_value
      - .offset:         152
        .size:           12
        .value_kind:     by_value
      - .offset:         164
        .size:           12
        .value_kind:     by_value
      - .offset:         176
        .size:           4
        .value_kind:     by_value
      - .offset:         180
        .size:           4
        .value_kind:     by_value
      - .offset:         184
        .size:           4
        .value_kind:     hidden_block_count_x
      - .offset:         188
        .size:           4
        .value_kind:     hidden_block_count_y
      - .offset:         192
        .size:           4
        .value_kind:     hidden_block_count_z
      - .offset:         196
        .size:           2
        .value_kind:     hidden_group_size_x
      - .offset:         198
        .size:           2
        .value_kind:     hidden_group_size_y
      - .offset:         200
        .size:           2
        .value_kind:     hidden_group_size_z
      - .offset:         202
        .size:           2
        .value_kind:     hidden_remainder_x
      - .offset:         204
        .size:           2
        .value_kind:     hidden_remainder_y
      - .offset:         206
        .size:           2
        .value_kind:     hidden_remainder_z
      - .offset:         224
        .size:           8
        .value_kind:     hidden_global_offset_x
      - .offset:         232
        .size:           8
        .value_kind:     hidden_global_offset_y
      - .offset:         240
        .size:           8
        .value_kind:     hidden_global_offset_z
      - .offset:         248
        .size:           2
        .value_kind:     hidden_grid_dims
    .group_segment_fixed_size: 0
    .kernarg_segment_align: 8
    .kernarg_segment_size: 440
    .language:       OpenCL C
    .language_version:
      - 2
      - 0
    .max_flat_workgroup_size: 256
    .name:           _Z20gated_delta_net_cudaILi64ELb1ELb1EEvPKfS1_S1_S1_S1_S1_Pfllllllllllll15HIP_vector_typeIjLj3EES4_fi
    .private_segment_fixed_size: 0
    .sgpr_count:     60
    .sgpr_spill_count: 0
    .symbol:         _Z20gated_delta_net_cudaILi64ELb1ELb1EEvPKfS1_S1_S1_S1_S1_Pfllllllllllll15HIP_vector_typeIjLj3EES4_fi.kd
    .uniform_work_group_size: 1
    .uses_dynamic_stack: false
    .vgpr_count:     23
    .vgpr_spill_count: 0
    .wavefront_size: 64
  - .args:
      - .address_space:  global
        .offset:         0
        .size:           8
        .value_kind:     global_buffer
      - .address_space:  global
        .offset:         8
        .size:           8
        .value_kind:     global_buffer
      - .address_space:  global
        .offset:         16
        .size:           8
        .value_kind:     global_buffer
      - .address_space:  global
        .offset:         24
        .size:           8
        .value_kind:     global_buffer
      - .address_space:  global
        .offset:         32
        .size:           8
        .value_kind:     global_buffer
      - .address_space:  global
        .offset:         40
        .size:           8
        .value_kind:     global_buffer
      - .address_space:  global
        .offset:         48
        .size:           8
        .value_kind:     global_buffer
      - .offset:         56
        .size:           8
        .value_kind:     by_value
      - .offset:         64
        .size:           8
        .value_kind:     by_value
      - .offset:         72
        .size:           8
        .value_kind:     by_value
      - .offset:         80
        .size:           8
        .value_kind:     by_value
      - .offset:         88
        .size:           8
        .value_kind:     by_value
      - .offset:         96
        .size:           8
        .value_kind:     by_value
      - .offset:         104
        .size:           8
        .value_kind:     by_value
      - .offset:         112
        .size:           8
        .value_kind:     by_value
      - .offset:         120
        .size:           8
        .value_kind:     by_value
      - .offset:         128
        .size:           8
        .value_kind:     by_value
      - .offset:         136
        .size:           8
        .value_kind:     by_value
      - .offset:         144
        .size:           8
        .value_kind:     by_value
      - .offset:         152
        .size:           12
        .value_kind:     by_value
      - .offset:         164
        .size:           12
        .value_kind:     by_value
      - .offset:         176
        .size:           4
        .value_kind:     by_value
      - .offset:         180
        .size:           4
        .value_kind:     by_value
      - .offset:         184
        .size:           4
        .value_kind:     hidden_block_count_x
      - .offset:         188
        .size:           4
        .value_kind:     hidden_block_count_y
      - .offset:         192
        .size:           4
        .value_kind:     hidden_block_count_z
      - .offset:         196
        .size:           2
        .value_kind:     hidden_group_size_x
      - .offset:         198
        .size:           2
        .value_kind:     hidden_group_size_y
      - .offset:         200
        .size:           2
        .value_kind:     hidden_group_size_z
      - .offset:         202
        .size:           2
        .value_kind:     hidden_remainder_x
      - .offset:         204
        .size:           2
        .value_kind:     hidden_remainder_y
      - .offset:         206
        .size:           2
        .value_kind:     hidden_remainder_z
      - .offset:         224
        .size:           8
        .value_kind:     hidden_global_offset_x
      - .offset:         232
        .size:           8
        .value_kind:     hidden_global_offset_y
      - .offset:         240
        .size:           8
        .value_kind:     hidden_global_offset_z
      - .offset:         248
        .size:           2
        .value_kind:     hidden_grid_dims
    .group_segment_fixed_size: 0
    .kernarg_segment_align: 8
    .kernarg_segment_size: 440
    .language:       OpenCL C
    .language_version:
      - 2
      - 0
    .max_flat_workgroup_size: 256
    .name:           _Z20gated_delta_net_cudaILi128ELb1ELb1EEvPKfS1_S1_S1_S1_S1_Pfllllllllllll15HIP_vector_typeIjLj3EES4_fi
    .private_segment_fixed_size: 0
    .sgpr_count:     64
    .sgpr_spill_count: 0
    .symbol:         _Z20gated_delta_net_cudaILi128ELb1ELb1EEvPKfS1_S1_S1_S1_S1_Pfllllllllllll15HIP_vector_typeIjLj3EES4_fi.kd
    .uniform_work_group_size: 1
    .uses_dynamic_stack: false
    .vgpr_count:     31
    .vgpr_spill_count: 0
    .wavefront_size: 64
  - .args:
      - .address_space:  global
        .offset:         0
        .size:           8
        .value_kind:     global_buffer
      - .address_space:  global
        .offset:         8
        .size:           8
        .value_kind:     global_buffer
      - .address_space:  global
        .offset:         16
        .size:           8
        .value_kind:     global_buffer
      - .address_space:  global
        .offset:         24
        .size:           8
        .value_kind:     global_buffer
      - .address_space:  global
        .offset:         32
        .size:           8
        .value_kind:     global_buffer
      - .address_space:  global
        .offset:         40
        .size:           8
        .value_kind:     global_buffer
      - .address_space:  global
        .offset:         48
        .size:           8
        .value_kind:     global_buffer
      - .offset:         56
        .size:           8
        .value_kind:     by_value
      - .offset:         64
        .size:           8
        .value_kind:     by_value
      - .offset:         72
        .size:           8
        .value_kind:     by_value
      - .offset:         80
        .size:           8
        .value_kind:     by_value
      - .offset:         88
        .size:           8
        .value_kind:     by_value
      - .offset:         96
        .size:           8
        .value_kind:     by_value
      - .offset:         104
        .size:           8
        .value_kind:     by_value
      - .offset:         112
        .size:           8
        .value_kind:     by_value
      - .offset:         120
        .size:           8
        .value_kind:     by_value
      - .offset:         128
        .size:           8
        .value_kind:     by_value
      - .offset:         136
        .size:           8
        .value_kind:     by_value
      - .offset:         144
        .size:           8
        .value_kind:     by_value
      - .offset:         152
        .size:           12
        .value_kind:     by_value
      - .offset:         164
        .size:           12
        .value_kind:     by_value
      - .offset:         176
        .size:           4
        .value_kind:     by_value
      - .offset:         180
        .size:           4
        .value_kind:     by_value
      - .offset:         184
        .size:           4
        .value_kind:     hidden_block_count_x
      - .offset:         188
        .size:           4
        .value_kind:     hidden_block_count_y
      - .offset:         192
        .size:           4
        .value_kind:     hidden_block_count_z
      - .offset:         196
        .size:           2
        .value_kind:     hidden_group_size_x
      - .offset:         198
        .size:           2
        .value_kind:     hidden_group_size_y
      - .offset:         200
        .size:           2
        .value_kind:     hidden_group_size_z
      - .offset:         202
        .size:           2
        .value_kind:     hidden_remainder_x
      - .offset:         204
        .size:           2
        .value_kind:     hidden_remainder_y
      - .offset:         206
        .size:           2
        .value_kind:     hidden_remainder_z
      - .offset:         224
        .size:           8
        .value_kind:     hidden_global_offset_x
      - .offset:         232
        .size:           8
        .value_kind:     hidden_global_offset_y
      - .offset:         240
        .size:           8
        .value_kind:     hidden_global_offset_z
      - .offset:         248
        .size:           2
        .value_kind:     hidden_grid_dims
    .group_segment_fixed_size: 0
    .kernarg_segment_align: 8
    .kernarg_segment_size: 440
    .language:       OpenCL C
    .language_version:
      - 2
      - 0
    .max_flat_workgroup_size: 64
    .name:           _Z20gated_delta_net_cudaILi16ELb1ELb0EEvPKfS1_S1_S1_S1_S1_Pfllllllllllll15HIP_vector_typeIjLj3EES4_fi
    .private_segment_fixed_size: 0
    .sgpr_count:     60
    .sgpr_spill_count: 0
    .symbol:         _Z20gated_delta_net_cudaILi16ELb1ELb0EEvPKfS1_S1_S1_S1_S1_Pfllllllllllll15HIP_vector_typeIjLj3EES4_fi.kd
    .uniform_work_group_size: 1
    .uses_dynamic_stack: false
    .vgpr_count:     21
    .vgpr_spill_count: 0
    .wavefront_size: 64
  - .args:
      - .address_space:  global
        .offset:         0
        .size:           8
        .value_kind:     global_buffer
      - .address_space:  global
        .offset:         8
        .size:           8
        .value_kind:     global_buffer
      - .address_space:  global
        .offset:         16
        .size:           8
        .value_kind:     global_buffer
      - .address_space:  global
        .offset:         24
        .size:           8
        .value_kind:     global_buffer
      - .address_space:  global
        .offset:         32
        .size:           8
        .value_kind:     global_buffer
      - .address_space:  global
        .offset:         40
        .size:           8
        .value_kind:     global_buffer
      - .address_space:  global
        .offset:         48
        .size:           8
        .value_kind:     global_buffer
      - .offset:         56
        .size:           8
        .value_kind:     by_value
      - .offset:         64
        .size:           8
        .value_kind:     by_value
      - .offset:         72
        .size:           8
        .value_kind:     by_value
      - .offset:         80
        .size:           8
        .value_kind:     by_value
      - .offset:         88
        .size:           8
        .value_kind:     by_value
      - .offset:         96
        .size:           8
        .value_kind:     by_value
      - .offset:         104
        .size:           8
        .value_kind:     by_value
      - .offset:         112
        .size:           8
        .value_kind:     by_value
      - .offset:         120
        .size:           8
        .value_kind:     by_value
      - .offset:         128
        .size:           8
        .value_kind:     by_value
      - .offset:         136
        .size:           8
        .value_kind:     by_value
      - .offset:         144
        .size:           8
        .value_kind:     by_value
      - .offset:         152
        .size:           12
        .value_kind:     by_value
      - .offset:         164
        .size:           12
        .value_kind:     by_value
      - .offset:         176
        .size:           4
        .value_kind:     by_value
      - .offset:         180
        .size:           4
        .value_kind:     by_value
      - .offset:         184
        .size:           4
        .value_kind:     hidden_block_count_x
      - .offset:         188
        .size:           4
        .value_kind:     hidden_block_count_y
      - .offset:         192
        .size:           4
        .value_kind:     hidden_block_count_z
      - .offset:         196
        .size:           2
        .value_kind:     hidden_group_size_x
      - .offset:         198
        .size:           2
        .value_kind:     hidden_group_size_y
      - .offset:         200
        .size:           2
        .value_kind:     hidden_group_size_z
      - .offset:         202
        .size:           2
        .value_kind:     hidden_remainder_x
      - .offset:         204
        .size:           2
        .value_kind:     hidden_remainder_y
      - .offset:         206
        .size:           2
        .value_kind:     hidden_remainder_z
      - .offset:         224
        .size:           8
        .value_kind:     hidden_global_offset_x
      - .offset:         232
        .size:           8
        .value_kind:     hidden_global_offset_y
      - .offset:         240
        .size:           8
        .value_kind:     hidden_global_offset_z
      - .offset:         248
        .size:           2
        .value_kind:     hidden_grid_dims
    .group_segment_fixed_size: 0
    .kernarg_segment_align: 8
    .kernarg_segment_size: 440
    .language:       OpenCL C
    .language_version:
      - 2
      - 0
    .max_flat_workgroup_size: 128
    .name:           _Z20gated_delta_net_cudaILi32ELb1ELb0EEvPKfS1_S1_S1_S1_S1_Pfllllllllllll15HIP_vector_typeIjLj3EES4_fi
    .private_segment_fixed_size: 0
    .sgpr_count:     60
    .sgpr_spill_count: 0
    .symbol:         _Z20gated_delta_net_cudaILi32ELb1ELb0EEvPKfS1_S1_S1_S1_S1_Pfllllllllllll15HIP_vector_typeIjLj3EES4_fi.kd
    .uniform_work_group_size: 1
    .uses_dynamic_stack: false
    .vgpr_count:     22
    .vgpr_spill_count: 0
    .wavefront_size: 64
  - .args:
      - .address_space:  global
        .offset:         0
        .size:           8
        .value_kind:     global_buffer
      - .address_space:  global
        .offset:         8
        .size:           8
        .value_kind:     global_buffer
      - .address_space:  global
        .offset:         16
        .size:           8
        .value_kind:     global_buffer
      - .address_space:  global
        .offset:         24
        .size:           8
        .value_kind:     global_buffer
      - .address_space:  global
        .offset:         32
        .size:           8
        .value_kind:     global_buffer
      - .address_space:  global
        .offset:         40
        .size:           8
        .value_kind:     global_buffer
      - .address_space:  global
        .offset:         48
        .size:           8
        .value_kind:     global_buffer
      - .offset:         56
        .size:           8
        .value_kind:     by_value
      - .offset:         64
        .size:           8
        .value_kind:     by_value
      - .offset:         72
        .size:           8
        .value_kind:     by_value
      - .offset:         80
        .size:           8
        .value_kind:     by_value
      - .offset:         88
        .size:           8
        .value_kind:     by_value
      - .offset:         96
        .size:           8
        .value_kind:     by_value
      - .offset:         104
        .size:           8
        .value_kind:     by_value
      - .offset:         112
        .size:           8
        .value_kind:     by_value
      - .offset:         120
        .size:           8
        .value_kind:     by_value
      - .offset:         128
        .size:           8
        .value_kind:     by_value
      - .offset:         136
        .size:           8
        .value_kind:     by_value
      - .offset:         144
        .size:           8
        .value_kind:     by_value
      - .offset:         152
        .size:           12
        .value_kind:     by_value
      - .offset:         164
        .size:           12
        .value_kind:     by_value
      - .offset:         176
        .size:           4
        .value_kind:     by_value
      - .offset:         180
        .size:           4
        .value_kind:     by_value
      - .offset:         184
        .size:           4
        .value_kind:     hidden_block_count_x
      - .offset:         188
        .size:           4
        .value_kind:     hidden_block_count_y
      - .offset:         192
        .size:           4
        .value_kind:     hidden_block_count_z
      - .offset:         196
        .size:           2
        .value_kind:     hidden_group_size_x
      - .offset:         198
        .size:           2
        .value_kind:     hidden_group_size_y
      - .offset:         200
        .size:           2
        .value_kind:     hidden_group_size_z
      - .offset:         202
        .size:           2
        .value_kind:     hidden_remainder_x
      - .offset:         204
        .size:           2
        .value_kind:     hidden_remainder_y
      - .offset:         206
        .size:           2
        .value_kind:     hidden_remainder_z
      - .offset:         224
        .size:           8
        .value_kind:     hidden_global_offset_x
      - .offset:         232
        .size:           8
        .value_kind:     hidden_global_offset_y
      - .offset:         240
        .size:           8
        .value_kind:     hidden_global_offset_z
      - .offset:         248
        .size:           2
        .value_kind:     hidden_grid_dims
    .group_segment_fixed_size: 0
    .kernarg_segment_align: 8
    .kernarg_segment_size: 440
    .language:       OpenCL C
    .language_version:
      - 2
      - 0
    .max_flat_workgroup_size: 256
    .name:           _Z20gated_delta_net_cudaILi64ELb1ELb0EEvPKfS1_S1_S1_S1_S1_Pfllllllllllll15HIP_vector_typeIjLj3EES4_fi
    .private_segment_fixed_size: 0
    .sgpr_count:     60
    .sgpr_spill_count: 0
    .symbol:         _Z20gated_delta_net_cudaILi64ELb1ELb0EEvPKfS1_S1_S1_S1_S1_Pfllllllllllll15HIP_vector_typeIjLj3EES4_fi.kd
    .uniform_work_group_size: 1
    .uses_dynamic_stack: false
    .vgpr_count:     23
    .vgpr_spill_count: 0
    .wavefront_size: 64
  - .args:
      - .address_space:  global
        .offset:         0
        .size:           8
        .value_kind:     global_buffer
      - .address_space:  global
        .offset:         8
        .size:           8
        .value_kind:     global_buffer
      - .address_space:  global
        .offset:         16
        .size:           8
        .value_kind:     global_buffer
      - .address_space:  global
        .offset:         24
        .size:           8
        .value_kind:     global_buffer
      - .address_space:  global
        .offset:         32
        .size:           8
        .value_kind:     global_buffer
      - .address_space:  global
        .offset:         40
        .size:           8
        .value_kind:     global_buffer
      - .address_space:  global
        .offset:         48
        .size:           8
        .value_kind:     global_buffer
      - .offset:         56
        .size:           8
        .value_kind:     by_value
      - .offset:         64
        .size:           8
        .value_kind:     by_value
      - .offset:         72
        .size:           8
        .value_kind:     by_value
      - .offset:         80
        .size:           8
        .value_kind:     by_value
      - .offset:         88
        .size:           8
        .value_kind:     by_value
      - .offset:         96
        .size:           8
        .value_kind:     by_value
      - .offset:         104
        .size:           8
        .value_kind:     by_value
      - .offset:         112
        .size:           8
        .value_kind:     by_value
      - .offset:         120
        .size:           8
        .value_kind:     by_value
      - .offset:         128
        .size:           8
        .value_kind:     by_value
      - .offset:         136
        .size:           8
        .value_kind:     by_value
      - .offset:         144
        .size:           8
        .value_kind:     by_value
      - .offset:         152
        .size:           12
        .value_kind:     by_value
      - .offset:         164
        .size:           12
        .value_kind:     by_value
      - .offset:         176
        .size:           4
        .value_kind:     by_value
      - .offset:         180
        .size:           4
        .value_kind:     by_value
      - .offset:         184
        .size:           4
        .value_kind:     hidden_block_count_x
      - .offset:         188
        .size:           4
        .value_kind:     hidden_block_count_y
      - .offset:         192
        .size:           4
        .value_kind:     hidden_block_count_z
      - .offset:         196
        .size:           2
        .value_kind:     hidden_group_size_x
      - .offset:         198
        .size:           2
        .value_kind:     hidden_group_size_y
      - .offset:         200
        .size:           2
        .value_kind:     hidden_group_size_z
      - .offset:         202
        .size:           2
        .value_kind:     hidden_remainder_x
      - .offset:         204
        .size:           2
        .value_kind:     hidden_remainder_y
      - .offset:         206
        .size:           2
        .value_kind:     hidden_remainder_z
      - .offset:         224
        .size:           8
        .value_kind:     hidden_global_offset_x
      - .offset:         232
        .size:           8
        .value_kind:     hidden_global_offset_y
      - .offset:         240
        .size:           8
        .value_kind:     hidden_global_offset_z
      - .offset:         248
        .size:           2
        .value_kind:     hidden_grid_dims
    .group_segment_fixed_size: 0
    .kernarg_segment_align: 8
    .kernarg_segment_size: 440
    .language:       OpenCL C
    .language_version:
      - 2
      - 0
    .max_flat_workgroup_size: 256
    .name:           _Z20gated_delta_net_cudaILi128ELb1ELb0EEvPKfS1_S1_S1_S1_S1_Pfllllllllllll15HIP_vector_typeIjLj3EES4_fi
    .private_segment_fixed_size: 0
    .sgpr_count:     60
    .sgpr_spill_count: 0
    .symbol:         _Z20gated_delta_net_cudaILi128ELb1ELb0EEvPKfS1_S1_S1_S1_S1_Pfllllllllllll15HIP_vector_typeIjLj3EES4_fi.kd
    .uniform_work_group_size: 1
    .uses_dynamic_stack: false
    .vgpr_count:     31
    .vgpr_spill_count: 0
    .wavefront_size: 64
  - .args:
      - .address_space:  global
        .offset:         0
        .size:           8
        .value_kind:     global_buffer
      - .address_space:  global
        .offset:         8
        .size:           8
        .value_kind:     global_buffer
      - .address_space:  global
        .offset:         16
        .size:           8
        .value_kind:     global_buffer
      - .address_space:  global
        .offset:         24
        .size:           8
        .value_kind:     global_buffer
      - .address_space:  global
        .offset:         32
        .size:           8
        .value_kind:     global_buffer
      - .address_space:  global
        .offset:         40
        .size:           8
        .value_kind:     global_buffer
      - .address_space:  global
        .offset:         48
        .size:           8
        .value_kind:     global_buffer
      - .offset:         56
        .size:           8
        .value_kind:     by_value
      - .offset:         64
        .size:           8
        .value_kind:     by_value
      - .offset:         72
        .size:           8
        .value_kind:     by_value
      - .offset:         80
        .size:           8
        .value_kind:     by_value
      - .offset:         88
        .size:           8
        .value_kind:     by_value
      - .offset:         96
        .size:           8
        .value_kind:     by_value
      - .offset:         104
        .size:           8
        .value_kind:     by_value
      - .offset:         112
        .size:           8
        .value_kind:     by_value
      - .offset:         120
        .size:           8
        .value_kind:     by_value
      - .offset:         128
        .size:           8
        .value_kind:     by_value
      - .offset:         136
        .size:           8
        .value_kind:     by_value
      - .offset:         144
        .size:           8
        .value_kind:     by_value
      - .offset:         152
        .size:           12
        .value_kind:     by_value
      - .offset:         164
        .size:           12
        .value_kind:     by_value
      - .offset:         176
        .size:           4
        .value_kind:     by_value
      - .offset:         180
        .size:           4
        .value_kind:     by_value
      - .offset:         184
        .size:           4
        .value_kind:     hidden_block_count_x
      - .offset:         188
        .size:           4
        .value_kind:     hidden_block_count_y
      - .offset:         192
        .size:           4
        .value_kind:     hidden_block_count_z
      - .offset:         196
        .size:           2
        .value_kind:     hidden_group_size_x
      - .offset:         198
        .size:           2
        .value_kind:     hidden_group_size_y
      - .offset:         200
        .size:           2
        .value_kind:     hidden_group_size_z
      - .offset:         202
        .size:           2
        .value_kind:     hidden_remainder_x
      - .offset:         204
        .size:           2
        .value_kind:     hidden_remainder_y
      - .offset:         206
        .size:           2
        .value_kind:     hidden_remainder_z
      - .offset:         224
        .size:           8
        .value_kind:     hidden_global_offset_x
      - .offset:         232
        .size:           8
        .value_kind:     hidden_global_offset_y
      - .offset:         240
        .size:           8
        .value_kind:     hidden_global_offset_z
      - .offset:         248
        .size:           2
        .value_kind:     hidden_grid_dims
    .group_segment_fixed_size: 0
    .kernarg_segment_align: 8
    .kernarg_segment_size: 440
    .language:       OpenCL C
    .language_version:
      - 2
      - 0
    .max_flat_workgroup_size: 64
    .name:           _Z20gated_delta_net_cudaILi16ELb0ELb1EEvPKfS1_S1_S1_S1_S1_Pfllllllllllll15HIP_vector_typeIjLj3EES4_fi
    .private_segment_fixed_size: 0
    .sgpr_count:     60
    .sgpr_spill_count: 0
    .symbol:         _Z20gated_delta_net_cudaILi16ELb0ELb1EEvPKfS1_S1_S1_S1_S1_Pfllllllllllll15HIP_vector_typeIjLj3EES4_fi.kd
    .uniform_work_group_size: 1
    .uses_dynamic_stack: false
    .vgpr_count:     24
    .vgpr_spill_count: 0
    .wavefront_size: 64
  - .args:
      - .address_space:  global
        .offset:         0
        .size:           8
        .value_kind:     global_buffer
      - .address_space:  global
        .offset:         8
        .size:           8
        .value_kind:     global_buffer
      - .address_space:  global
        .offset:         16
        .size:           8
        .value_kind:     global_buffer
      - .address_space:  global
        .offset:         24
        .size:           8
        .value_kind:     global_buffer
      - .address_space:  global
        .offset:         32
        .size:           8
        .value_kind:     global_buffer
      - .address_space:  global
        .offset:         40
        .size:           8
        .value_kind:     global_buffer
      - .address_space:  global
        .offset:         48
        .size:           8
        .value_kind:     global_buffer
      - .offset:         56
        .size:           8
        .value_kind:     by_value
      - .offset:         64
        .size:           8
        .value_kind:     by_value
      - .offset:         72
        .size:           8
        .value_kind:     by_value
      - .offset:         80
        .size:           8
        .value_kind:     by_value
      - .offset:         88
        .size:           8
        .value_kind:     by_value
      - .offset:         96
        .size:           8
        .value_kind:     by_value
      - .offset:         104
        .size:           8
        .value_kind:     by_value
      - .offset:         112
        .size:           8
        .value_kind:     by_value
      - .offset:         120
        .size:           8
        .value_kind:     by_value
      - .offset:         128
        .size:           8
        .value_kind:     by_value
      - .offset:         136
        .size:           8
        .value_kind:     by_value
      - .offset:         144
        .size:           8
        .value_kind:     by_value
      - .offset:         152
        .size:           12
        .value_kind:     by_value
      - .offset:         164
        .size:           12
        .value_kind:     by_value
      - .offset:         176
        .size:           4
        .value_kind:     by_value
      - .offset:         180
        .size:           4
        .value_kind:     by_value
      - .offset:         184
        .size:           4
        .value_kind:     hidden_block_count_x
      - .offset:         188
        .size:           4
        .value_kind:     hidden_block_count_y
      - .offset:         192
        .size:           4
        .value_kind:     hidden_block_count_z
      - .offset:         196
        .size:           2
        .value_kind:     hidden_group_size_x
      - .offset:         198
        .size:           2
        .value_kind:     hidden_group_size_y
      - .offset:         200
        .size:           2
        .value_kind:     hidden_group_size_z
      - .offset:         202
        .size:           2
        .value_kind:     hidden_remainder_x
      - .offset:         204
        .size:           2
        .value_kind:     hidden_remainder_y
      - .offset:         206
        .size:           2
        .value_kind:     hidden_remainder_z
      - .offset:         224
        .size:           8
        .value_kind:     hidden_global_offset_x
      - .offset:         232
        .size:           8
        .value_kind:     hidden_global_offset_y
      - .offset:         240
        .size:           8
        .value_kind:     hidden_global_offset_z
      - .offset:         248
        .size:           2
        .value_kind:     hidden_grid_dims
    .group_segment_fixed_size: 0
    .kernarg_segment_align: 8
    .kernarg_segment_size: 440
    .language:       OpenCL C
    .language_version:
      - 2
      - 0
    .max_flat_workgroup_size: 128
    .name:           _Z20gated_delta_net_cudaILi32ELb0ELb1EEvPKfS1_S1_S1_S1_S1_Pfllllllllllll15HIP_vector_typeIjLj3EES4_fi
    .private_segment_fixed_size: 0
    .sgpr_count:     60
    .sgpr_spill_count: 0
    .symbol:         _Z20gated_delta_net_cudaILi32ELb0ELb1EEvPKfS1_S1_S1_S1_S1_Pfllllllllllll15HIP_vector_typeIjLj3EES4_fi.kd
    .uniform_work_group_size: 1
    .uses_dynamic_stack: false
    .vgpr_count:     21
    .vgpr_spill_count: 0
    .wavefront_size: 64
  - .args:
      - .address_space:  global
        .offset:         0
        .size:           8
        .value_kind:     global_buffer
      - .address_space:  global
        .offset:         8
        .size:           8
        .value_kind:     global_buffer
      - .address_space:  global
        .offset:         16
        .size:           8
        .value_kind:     global_buffer
      - .address_space:  global
        .offset:         24
        .size:           8
        .value_kind:     global_buffer
      - .address_space:  global
        .offset:         32
        .size:           8
        .value_kind:     global_buffer
      - .address_space:  global
        .offset:         40
        .size:           8
        .value_kind:     global_buffer
      - .address_space:  global
        .offset:         48
        .size:           8
        .value_kind:     global_buffer
      - .offset:         56
        .size:           8
        .value_kind:     by_value
      - .offset:         64
        .size:           8
        .value_kind:     by_value
      - .offset:         72
        .size:           8
        .value_kind:     by_value
      - .offset:         80
        .size:           8
        .value_kind:     by_value
      - .offset:         88
        .size:           8
        .value_kind:     by_value
      - .offset:         96
        .size:           8
        .value_kind:     by_value
      - .offset:         104
        .size:           8
        .value_kind:     by_value
      - .offset:         112
        .size:           8
        .value_kind:     by_value
      - .offset:         120
        .size:           8
        .value_kind:     by_value
      - .offset:         128
        .size:           8
        .value_kind:     by_value
      - .offset:         136
        .size:           8
        .value_kind:     by_value
      - .offset:         144
        .size:           8
        .value_kind:     by_value
      - .offset:         152
        .size:           12
        .value_kind:     by_value
      - .offset:         164
        .size:           12
        .value_kind:     by_value
      - .offset:         176
        .size:           4
        .value_kind:     by_value
      - .offset:         180
        .size:           4
        .value_kind:     by_value
      - .offset:         184
        .size:           4
        .value_kind:     hidden_block_count_x
      - .offset:         188
        .size:           4
        .value_kind:     hidden_block_count_y
      - .offset:         192
        .size:           4
        .value_kind:     hidden_block_count_z
      - .offset:         196
        .size:           2
        .value_kind:     hidden_group_size_x
      - .offset:         198
        .size:           2
        .value_kind:     hidden_group_size_y
      - .offset:         200
        .size:           2
        .value_kind:     hidden_group_size_z
      - .offset:         202
        .size:           2
        .value_kind:     hidden_remainder_x
      - .offset:         204
        .size:           2
        .value_kind:     hidden_remainder_y
      - .offset:         206
        .size:           2
        .value_kind:     hidden_remainder_z
      - .offset:         224
        .size:           8
        .value_kind:     hidden_global_offset_x
      - .offset:         232
        .size:           8
        .value_kind:     hidden_global_offset_y
      - .offset:         240
        .size:           8
        .value_kind:     hidden_global_offset_z
      - .offset:         248
        .size:           2
        .value_kind:     hidden_grid_dims
    .group_segment_fixed_size: 0
    .kernarg_segment_align: 8
    .kernarg_segment_size: 440
    .language:       OpenCL C
    .language_version:
      - 2
      - 0
    .max_flat_workgroup_size: 256
    .name:           _Z20gated_delta_net_cudaILi64ELb0ELb1EEvPKfS1_S1_S1_S1_S1_Pfllllllllllll15HIP_vector_typeIjLj3EES4_fi
    .private_segment_fixed_size: 0
    .sgpr_count:     60
    .sgpr_spill_count: 0
    .symbol:         _Z20gated_delta_net_cudaILi64ELb0ELb1EEvPKfS1_S1_S1_S1_S1_Pfllllllllllll15HIP_vector_typeIjLj3EES4_fi.kd
    .uniform_work_group_size: 1
    .uses_dynamic_stack: false
    .vgpr_count:     22
    .vgpr_spill_count: 0
    .wavefront_size: 64
  - .args:
      - .address_space:  global
        .offset:         0
        .size:           8
        .value_kind:     global_buffer
      - .address_space:  global
        .offset:         8
        .size:           8
        .value_kind:     global_buffer
      - .address_space:  global
        .offset:         16
        .size:           8
        .value_kind:     global_buffer
      - .address_space:  global
        .offset:         24
        .size:           8
        .value_kind:     global_buffer
      - .address_space:  global
        .offset:         32
        .size:           8
        .value_kind:     global_buffer
      - .address_space:  global
        .offset:         40
        .size:           8
        .value_kind:     global_buffer
      - .address_space:  global
        .offset:         48
        .size:           8
        .value_kind:     global_buffer
      - .offset:         56
        .size:           8
        .value_kind:     by_value
      - .offset:         64
        .size:           8
        .value_kind:     by_value
      - .offset:         72
        .size:           8
        .value_kind:     by_value
      - .offset:         80
        .size:           8
        .value_kind:     by_value
      - .offset:         88
        .size:           8
        .value_kind:     by_value
      - .offset:         96
        .size:           8
        .value_kind:     by_value
      - .offset:         104
        .size:           8
        .value_kind:     by_value
      - .offset:         112
        .size:           8
        .value_kind:     by_value
      - .offset:         120
        .size:           8
        .value_kind:     by_value
      - .offset:         128
        .size:           8
        .value_kind:     by_value
      - .offset:         136
        .size:           8
        .value_kind:     by_value
      - .offset:         144
        .size:           8
        .value_kind:     by_value
      - .offset:         152
        .size:           12
        .value_kind:     by_value
      - .offset:         164
        .size:           12
        .value_kind:     by_value
      - .offset:         176
        .size:           4
        .value_kind:     by_value
      - .offset:         180
        .size:           4
        .value_kind:     by_value
      - .offset:         184
        .size:           4
        .value_kind:     hidden_block_count_x
      - .offset:         188
        .size:           4
        .value_kind:     hidden_block_count_y
      - .offset:         192
        .size:           4
        .value_kind:     hidden_block_count_z
      - .offset:         196
        .size:           2
        .value_kind:     hidden_group_size_x
      - .offset:         198
        .size:           2
        .value_kind:     hidden_group_size_y
      - .offset:         200
        .size:           2
        .value_kind:     hidden_group_size_z
      - .offset:         202
        .size:           2
        .value_kind:     hidden_remainder_x
      - .offset:         204
        .size:           2
        .value_kind:     hidden_remainder_y
      - .offset:         206
        .size:           2
        .value_kind:     hidden_remainder_z
      - .offset:         224
        .size:           8
        .value_kind:     hidden_global_offset_x
      - .offset:         232
        .size:           8
        .value_kind:     hidden_global_offset_y
      - .offset:         240
        .size:           8
        .value_kind:     hidden_global_offset_z
      - .offset:         248
        .size:           2
        .value_kind:     hidden_grid_dims
    .group_segment_fixed_size: 0
    .kernarg_segment_align: 8
    .kernarg_segment_size: 440
    .language:       OpenCL C
    .language_version:
      - 2
      - 0
    .max_flat_workgroup_size: 256
    .name:           _Z20gated_delta_net_cudaILi128ELb0ELb1EEvPKfS1_S1_S1_S1_S1_Pfllllllllllll15HIP_vector_typeIjLj3EES4_fi
    .private_segment_fixed_size: 0
    .sgpr_count:     64
    .sgpr_spill_count: 0
    .symbol:         _Z20gated_delta_net_cudaILi128ELb0ELb1EEvPKfS1_S1_S1_S1_S1_Pfllllllllllll15HIP_vector_typeIjLj3EES4_fi.kd
    .uniform_work_group_size: 1
    .uses_dynamic_stack: false
    .vgpr_count:     23
    .vgpr_spill_count: 0
    .wavefront_size: 64
  - .args:
      - .address_space:  global
        .offset:         0
        .size:           8
        .value_kind:     global_buffer
      - .address_space:  global
        .offset:         8
        .size:           8
        .value_kind:     global_buffer
      - .address_space:  global
        .offset:         16
        .size:           8
        .value_kind:     global_buffer
      - .address_space:  global
        .offset:         24
        .size:           8
        .value_kind:     global_buffer
      - .address_space:  global
        .offset:         32
        .size:           8
        .value_kind:     global_buffer
      - .address_space:  global
        .offset:         40
        .size:           8
        .value_kind:     global_buffer
      - .address_space:  global
        .offset:         48
        .size:           8
        .value_kind:     global_buffer
      - .offset:         56
        .size:           8
        .value_kind:     by_value
      - .offset:         64
        .size:           8
        .value_kind:     by_value
      - .offset:         72
        .size:           8
        .value_kind:     by_value
      - .offset:         80
        .size:           8
        .value_kind:     by_value
      - .offset:         88
        .size:           8
        .value_kind:     by_value
      - .offset:         96
        .size:           8
        .value_kind:     by_value
      - .offset:         104
        .size:           8
        .value_kind:     by_value
      - .offset:         112
        .size:           8
        .value_kind:     by_value
      - .offset:         120
        .size:           8
        .value_kind:     by_value
      - .offset:         128
        .size:           8
        .value_kind:     by_value
      - .offset:         136
        .size:           8
        .value_kind:     by_value
      - .offset:         144
        .size:           8
        .value_kind:     by_value
      - .offset:         152
        .size:           12
        .value_kind:     by_value
      - .offset:         164
        .size:           12
        .value_kind:     by_value
      - .offset:         176
        .size:           4
        .value_kind:     by_value
      - .offset:         180
        .size:           4
        .value_kind:     by_value
      - .offset:         184
        .size:           4
        .value_kind:     hidden_block_count_x
      - .offset:         188
        .size:           4
        .value_kind:     hidden_block_count_y
      - .offset:         192
        .size:           4
        .value_kind:     hidden_block_count_z
      - .offset:         196
        .size:           2
        .value_kind:     hidden_group_size_x
      - .offset:         198
        .size:           2
        .value_kind:     hidden_group_size_y
      - .offset:         200
        .size:           2
        .value_kind:     hidden_group_size_z
      - .offset:         202
        .size:           2
        .value_kind:     hidden_remainder_x
      - .offset:         204
        .size:           2
        .value_kind:     hidden_remainder_y
      - .offset:         206
        .size:           2
        .value_kind:     hidden_remainder_z
      - .offset:         224
        .size:           8
        .value_kind:     hidden_global_offset_x
      - .offset:         232
        .size:           8
        .value_kind:     hidden_global_offset_y
      - .offset:         240
        .size:           8
        .value_kind:     hidden_global_offset_z
      - .offset:         248
        .size:           2
        .value_kind:     hidden_grid_dims
    .group_segment_fixed_size: 0
    .kernarg_segment_align: 8
    .kernarg_segment_size: 440
    .language:       OpenCL C
    .language_version:
      - 2
      - 0
    .max_flat_workgroup_size: 64
    .name:           _Z20gated_delta_net_cudaILi16ELb0ELb0EEvPKfS1_S1_S1_S1_S1_Pfllllllllllll15HIP_vector_typeIjLj3EES4_fi
    .private_segment_fixed_size: 0
    .sgpr_count:     60
    .sgpr_spill_count: 0
    .symbol:         _Z20gated_delta_net_cudaILi16ELb0ELb0EEvPKfS1_S1_S1_S1_S1_Pfllllllllllll15HIP_vector_typeIjLj3EES4_fi.kd
    .uniform_work_group_size: 1
    .uses_dynamic_stack: false
    .vgpr_count:     22
    .vgpr_spill_count: 0
    .wavefront_size: 64
  - .args:
      - .address_space:  global
        .offset:         0
        .size:           8
        .value_kind:     global_buffer
      - .address_space:  global
        .offset:         8
        .size:           8
        .value_kind:     global_buffer
      - .address_space:  global
        .offset:         16
        .size:           8
        .value_kind:     global_buffer
      - .address_space:  global
        .offset:         24
        .size:           8
        .value_kind:     global_buffer
      - .address_space:  global
        .offset:         32
        .size:           8
        .value_kind:     global_buffer
      - .address_space:  global
        .offset:         40
        .size:           8
        .value_kind:     global_buffer
      - .address_space:  global
        .offset:         48
        .size:           8
        .value_kind:     global_buffer
      - .offset:         56
        .size:           8
        .value_kind:     by_value
      - .offset:         64
        .size:           8
        .value_kind:     by_value
      - .offset:         72
        .size:           8
        .value_kind:     by_value
      - .offset:         80
        .size:           8
        .value_kind:     by_value
      - .offset:         88
        .size:           8
        .value_kind:     by_value
      - .offset:         96
        .size:           8
        .value_kind:     by_value
      - .offset:         104
        .size:           8
        .value_kind:     by_value
      - .offset:         112
        .size:           8
        .value_kind:     by_value
      - .offset:         120
        .size:           8
        .value_kind:     by_value
      - .offset:         128
        .size:           8
        .value_kind:     by_value
      - .offset:         136
        .size:           8
        .value_kind:     by_value
      - .offset:         144
        .size:           8
        .value_kind:     by_value
      - .offset:         152
        .size:           12
        .value_kind:     by_value
      - .offset:         164
        .size:           12
        .value_kind:     by_value
      - .offset:         176
        .size:           4
        .value_kind:     by_value
      - .offset:         180
        .size:           4
        .value_kind:     by_value
      - .offset:         184
        .size:           4
        .value_kind:     hidden_block_count_x
      - .offset:         188
        .size:           4
        .value_kind:     hidden_block_count_y
      - .offset:         192
        .size:           4
        .value_kind:     hidden_block_count_z
      - .offset:         196
        .size:           2
        .value_kind:     hidden_group_size_x
      - .offset:         198
        .size:           2
        .value_kind:     hidden_group_size_y
      - .offset:         200
        .size:           2
        .value_kind:     hidden_group_size_z
      - .offset:         202
        .size:           2
        .value_kind:     hidden_remainder_x
      - .offset:         204
        .size:           2
        .value_kind:     hidden_remainder_y
      - .offset:         206
        .size:           2
        .value_kind:     hidden_remainder_z
      - .offset:         224
        .size:           8
        .value_kind:     hidden_global_offset_x
      - .offset:         232
        .size:           8
        .value_kind:     hidden_global_offset_y
      - .offset:         240
        .size:           8
        .value_kind:     hidden_global_offset_z
      - .offset:         248
        .size:           2
        .value_kind:     hidden_grid_dims
    .group_segment_fixed_size: 0
    .kernarg_segment_align: 8
    .kernarg_segment_size: 440
    .language:       OpenCL C
    .language_version:
      - 2
      - 0
    .max_flat_workgroup_size: 128
    .name:           _Z20gated_delta_net_cudaILi32ELb0ELb0EEvPKfS1_S1_S1_S1_S1_Pfllllllllllll15HIP_vector_typeIjLj3EES4_fi
    .private_segment_fixed_size: 0
    .sgpr_count:     60
    .sgpr_spill_count: 0
    .symbol:         _Z20gated_delta_net_cudaILi32ELb0ELb0EEvPKfS1_S1_S1_S1_S1_Pfllllllllllll15HIP_vector_typeIjLj3EES4_fi.kd
    .uniform_work_group_size: 1
    .uses_dynamic_stack: false
    .vgpr_count:     23
    .vgpr_spill_count: 0
    .wavefront_size: 64
  - .args:
      - .address_space:  global
        .offset:         0
        .size:           8
        .value_kind:     global_buffer
      - .address_space:  global
        .offset:         8
        .size:           8
        .value_kind:     global_buffer
      - .address_space:  global
        .offset:         16
        .size:           8
        .value_kind:     global_buffer
      - .address_space:  global
        .offset:         24
        .size:           8
        .value_kind:     global_buffer
      - .address_space:  global
        .offset:         32
        .size:           8
        .value_kind:     global_buffer
      - .address_space:  global
        .offset:         40
        .size:           8
        .value_kind:     global_buffer
      - .address_space:  global
        .offset:         48
        .size:           8
        .value_kind:     global_buffer
      - .offset:         56
        .size:           8
        .value_kind:     by_value
      - .offset:         64
        .size:           8
        .value_kind:     by_value
      - .offset:         72
        .size:           8
        .value_kind:     by_value
      - .offset:         80
        .size:           8
        .value_kind:     by_value
      - .offset:         88
        .size:           8
        .value_kind:     by_value
      - .offset:         96
        .size:           8
        .value_kind:     by_value
      - .offset:         104
        .size:           8
        .value_kind:     by_value
      - .offset:         112
        .size:           8
        .value_kind:     by_value
      - .offset:         120
        .size:           8
        .value_kind:     by_value
      - .offset:         128
        .size:           8
        .value_kind:     by_value
      - .offset:         136
        .size:           8
        .value_kind:     by_value
      - .offset:         144
        .size:           8
        .value_kind:     by_value
      - .offset:         152
        .size:           12
        .value_kind:     by_value
      - .offset:         164
        .size:           12
        .value_kind:     by_value
      - .offset:         176
        .size:           4
        .value_kind:     by_value
      - .offset:         180
        .size:           4
        .value_kind:     by_value
      - .offset:         184
        .size:           4
        .value_kind:     hidden_block_count_x
      - .offset:         188
        .size:           4
        .value_kind:     hidden_block_count_y
      - .offset:         192
        .size:           4
        .value_kind:     hidden_block_count_z
      - .offset:         196
        .size:           2
        .value_kind:     hidden_group_size_x
      - .offset:         198
        .size:           2
        .value_kind:     hidden_group_size_y
      - .offset:         200
        .size:           2
        .value_kind:     hidden_group_size_z
      - .offset:         202
        .size:           2
        .value_kind:     hidden_remainder_x
      - .offset:         204
        .size:           2
        .value_kind:     hidden_remainder_y
      - .offset:         206
        .size:           2
        .value_kind:     hidden_remainder_z
      - .offset:         224
        .size:           8
        .value_kind:     hidden_global_offset_x
      - .offset:         232
        .size:           8
        .value_kind:     hidden_global_offset_y
      - .offset:         240
        .size:           8
        .value_kind:     hidden_global_offset_z
      - .offset:         248
        .size:           2
        .value_kind:     hidden_grid_dims
    .group_segment_fixed_size: 0
    .kernarg_segment_align: 8
    .kernarg_segment_size: 440
    .language:       OpenCL C
    .language_version:
      - 2
      - 0
    .max_flat_workgroup_size: 256
    .name:           _Z20gated_delta_net_cudaILi64ELb0ELb0EEvPKfS1_S1_S1_S1_S1_Pfllllllllllll15HIP_vector_typeIjLj3EES4_fi
    .private_segment_fixed_size: 0
    .sgpr_count:     60
    .sgpr_spill_count: 0
    .symbol:         _Z20gated_delta_net_cudaILi64ELb0ELb0EEvPKfS1_S1_S1_S1_S1_Pfllllllllllll15HIP_vector_typeIjLj3EES4_fi.kd
    .uniform_work_group_size: 1
    .uses_dynamic_stack: false
    .vgpr_count:     22
    .vgpr_spill_count: 0
    .wavefront_size: 64
  - .args:
      - .address_space:  global
        .offset:         0
        .size:           8
        .value_kind:     global_buffer
      - .address_space:  global
        .offset:         8
        .size:           8
        .value_kind:     global_buffer
      - .address_space:  global
        .offset:         16
        .size:           8
        .value_kind:     global_buffer
      - .address_space:  global
        .offset:         24
        .size:           8
        .value_kind:     global_buffer
      - .address_space:  global
        .offset:         32
        .size:           8
        .value_kind:     global_buffer
      - .address_space:  global
        .offset:         40
        .size:           8
        .value_kind:     global_buffer
      - .address_space:  global
        .offset:         48
        .size:           8
        .value_kind:     global_buffer
      - .offset:         56
        .size:           8
        .value_kind:     by_value
      - .offset:         64
        .size:           8
        .value_kind:     by_value
      - .offset:         72
        .size:           8
        .value_kind:     by_value
      - .offset:         80
        .size:           8
        .value_kind:     by_value
      - .offset:         88
        .size:           8
        .value_kind:     by_value
      - .offset:         96
        .size:           8
        .value_kind:     by_value
      - .offset:         104
        .size:           8
        .value_kind:     by_value
      - .offset:         112
        .size:           8
        .value_kind:     by_value
      - .offset:         120
        .size:           8
        .value_kind:     by_value
      - .offset:         128
        .size:           8
        .value_kind:     by_value
      - .offset:         136
        .size:           8
        .value_kind:     by_value
      - .offset:         144
        .size:           8
        .value_kind:     by_value
      - .offset:         152
        .size:           12
        .value_kind:     by_value
      - .offset:         164
        .size:           12
        .value_kind:     by_value
      - .offset:         176
        .size:           4
        .value_kind:     by_value
      - .offset:         180
        .size:           4
        .value_kind:     by_value
      - .offset:         184
        .size:           4
        .value_kind:     hidden_block_count_x
      - .offset:         188
        .size:           4
        .value_kind:     hidden_block_count_y
      - .offset:         192
        .size:           4
        .value_kind:     hidden_block_count_z
      - .offset:         196
        .size:           2
        .value_kind:     hidden_group_size_x
      - .offset:         198
        .size:           2
        .value_kind:     hidden_group_size_y
      - .offset:         200
        .size:           2
        .value_kind:     hidden_group_size_z
      - .offset:         202
        .size:           2
        .value_kind:     hidden_remainder_x
      - .offset:         204
        .size:           2
        .value_kind:     hidden_remainder_y
      - .offset:         206
        .size:           2
        .value_kind:     hidden_remainder_z
      - .offset:         224
        .size:           8
        .value_kind:     hidden_global_offset_x
      - .offset:         232
        .size:           8
        .value_kind:     hidden_global_offset_y
      - .offset:         240
        .size:           8
        .value_kind:     hidden_global_offset_z
      - .offset:         248
        .size:           2
        .value_kind:     hidden_grid_dims
    .group_segment_fixed_size: 0
    .kernarg_segment_align: 8
    .kernarg_segment_size: 440
    .language:       OpenCL C
    .language_version:
      - 2
      - 0
    .max_flat_workgroup_size: 256
    .name:           _Z20gated_delta_net_cudaILi128ELb0ELb0EEvPKfS1_S1_S1_S1_S1_Pfllllllllllll15HIP_vector_typeIjLj3EES4_fi
    .private_segment_fixed_size: 0
    .sgpr_count:     60
    .sgpr_spill_count: 0
    .symbol:         _Z20gated_delta_net_cudaILi128ELb0ELb0EEvPKfS1_S1_S1_S1_S1_Pfllllllllllll15HIP_vector_typeIjLj3EES4_fi.kd
    .uniform_work_group_size: 1
    .uses_dynamic_stack: false
    .vgpr_count:     23
    .vgpr_spill_count: 0
    .wavefront_size: 64
amdhsa.target:   amdgcn-amd-amdhsa--gfx906
amdhsa.version:
  - 1
  - 2
...

	.end_amdgpu_metadata
